;; amdgpu-corpus repo=ROCm/rocFFT kind=compiled arch=gfx1100 opt=O3
	.text
	.amdgcn_target "amdgcn-amd-amdhsa--gfx1100"
	.amdhsa_code_object_version 6
	.protected	bluestein_single_back_len432_dim1_dp_op_CI_CI ; -- Begin function bluestein_single_back_len432_dim1_dp_op_CI_CI
	.globl	bluestein_single_back_len432_dim1_dp_op_CI_CI
	.p2align	8
	.type	bluestein_single_back_len432_dim1_dp_op_CI_CI,@function
bluestein_single_back_len432_dim1_dp_op_CI_CI: ; @bluestein_single_back_len432_dim1_dp_op_CI_CI
; %bb.0:
	s_load_b128 s[8:11], s[0:1], 0x28
	v_mul_u32_u24_e32 v1, 0x97c, v0
	v_mov_b32_e32 v9, 0
	s_mov_b32 s2, exec_lo
	s_delay_alu instid0(VALU_DEP_2) | instskip(NEXT) | instid1(VALU_DEP_1)
	v_lshrrev_b32_e32 v3, 16, v1
	v_lshl_add_u32 v8, s15, 1, v3
	s_waitcnt lgkmcnt(0)
	s_delay_alu instid0(VALU_DEP_1)
	v_cmpx_gt_u64_e64 s[8:9], v[8:9]
	s_cbranch_execz .LBB0_31
; %bb.1:
	s_clause 0x1
	s_load_b128 s[4:7], s[0:1], 0x18
	s_load_b64 s[16:17], s[0:1], 0x0
	v_mul_lo_u16 v1, v3, 27
	v_and_b32_e32 v3, 1, v3
	s_load_b64 s[8:9], s[0:1], 0x38
	s_delay_alu instid0(VALU_DEP_2) | instskip(NEXT) | instid1(VALU_DEP_1)
	v_sub_nc_u16 v2, v0, v1
	v_and_b32_e32 v32, 0xffff, v2
	s_delay_alu instid0(VALU_DEP_1)
	v_lshlrev_b32_e32 v29, 4, v32
	v_or_b32_e32 v10, 0x120, v32
	s_waitcnt lgkmcnt(0)
	s_load_b128 s[12:15], s[4:5], 0x0
	s_clause 0x3
	global_load_b128 v[51:54], v29, s[16:17]
	global_load_b128 v[136:139], v29, s[16:17] offset:432
	global_load_b128 v[55:58], v29, s[16:17] offset:2736
	;; [unrolled: 1-line block ×3, first 2 shown]
	v_add_co_u32 v6, s2, s16, v29
	s_delay_alu instid0(VALU_DEP_1)
	v_add_co_ci_u32_e64 v7, null, s17, 0, s2
	v_lshlrev_b32_e32 v9, 4, v10
	s_clause 0x4
	global_load_b128 v[144:147], v29, s[16:17] offset:864
	global_load_b128 v[148:151], v29, s[16:17] offset:1296
	;; [unrolled: 1-line block ×5, first 2 shown]
	v_add_co_u32 v37, vcc_lo, 0x1000, v6
	s_clause 0x1
	scratch_store_b64 off, v[6:7], off
	scratch_store_b32 off, v9, off offset:288
	v_mov_b32_e32 v6, v8
	v_add_co_ci_u32_e32 v38, vcc_lo, 0, v7, vcc_lo
	global_load_b128 v[176:179], v9, s[16:17]
	scratch_store_b64 off, v[6:7], off offset:8 ; 8-byte Folded Spill
	s_waitcnt lgkmcnt(0)
	v_mad_u64_u32 v[0:1], null, s14, v8, 0
	s_mul_i32 s3, s13, 0x90
	s_mul_hi_u32 s4, s12, 0x90
	s_mul_i32 s2, s12, 0x90
	s_add_i32 s3, s4, s3
	s_mul_i32 s4, s13, 0xfffff8b0
	s_mul_hi_u32 s5, s12, 0xfffffefb
	s_delay_alu instid0(VALU_DEP_1)
	v_mad_u64_u32 v[6:7], null, s15, v8, v[1:2]
	s_sub_i32 s4, s4, s12
	s_sub_i32 s5, s5, s12
	s_clause 0x2
	global_load_b128 v[172:175], v[37:38], off offset:944
	global_load_b128 v[164:167], v[37:38], off offset:1376
	;; [unrolled: 1-line block ×3, first 2 shown]
	v_mov_b32_e32 v1, v6
	v_mad_u64_u32 v[4:5], null, s12, v32, 0
	s_delay_alu instid0(VALU_DEP_2) | instskip(NEXT) | instid1(VALU_DEP_2)
	v_lshlrev_b64 v[0:1], 4, v[0:1]
	v_mad_u64_u32 v[7:8], null, s13, v32, v[5:6]
	v_mad_u64_u32 v[8:9], null, s12, v10, 0
	s_delay_alu instid0(VALU_DEP_2) | instskip(NEXT) | instid1(VALU_DEP_4)
	v_mov_b32_e32 v5, v7
	v_add_co_u32 v7, vcc_lo, s10, v0
	s_delay_alu instid0(VALU_DEP_3) | instskip(SKIP_1) | instid1(VALU_DEP_4)
	v_mov_b32_e32 v6, v9
	v_add_co_ci_u32_e32 v14, vcc_lo, s11, v1, vcc_lo
	v_lshlrev_b64 v[4:5], 4, v[4:5]
	s_lshl_b64 s[10:11], s[2:3], 4
	s_delay_alu instid0(VALU_DEP_3) | instskip(SKIP_2) | instid1(VALU_DEP_2)
	v_mad_u64_u32 v[0:1], null, s13, v10, v[6:7]
	s_mul_i32 s3, s13, 0xfffffefb
	s_mul_i32 s2, s12, 0xfffffefb
	v_add_co_u32 v10, vcc_lo, v7, v4
	v_add_co_ci_u32_e32 v11, vcc_lo, v14, v5, vcc_lo
	s_delay_alu instid0(VALU_DEP_3) | instskip(NEXT) | instid1(VALU_DEP_3)
	v_mov_b32_e32 v9, v0
	v_add_co_u32 v12, vcc_lo, v10, s10
	s_delay_alu instid0(VALU_DEP_3) | instskip(NEXT) | instid1(VALU_DEP_3)
	v_add_co_ci_u32_e32 v13, vcc_lo, s11, v11, vcc_lo
	v_lshlrev_b64 v[4:5], 4, v[8:9]
	s_add_i32 s3, s5, s3
	s_delay_alu instid0(VALU_DEP_2) | instskip(SKIP_1) | instid1(VALU_DEP_2)
	v_mad_u64_u32 v[0:1], null, 0xfffff8b0, s12, v[12:13]
	s_lshl_b64 s[2:3], s[2:3], 4
	v_add_co_u32 v4, vcc_lo, v7, v4
	s_delay_alu instid0(VALU_DEP_3) | instskip(NEXT) | instid1(VALU_DEP_3)
	v_add_co_ci_u32_e32 v5, vcc_lo, v14, v5, vcc_lo
	v_add_nc_u32_e32 v1, s4, v1
	s_delay_alu instid0(VALU_DEP_4)
	v_add_co_u32 v20, vcc_lo, v0, s10
	s_clause 0x2
	global_load_b128 v[4:7], v[4:5], off
	global_load_b128 v[8:11], v[10:11], off
	global_load_b128 v[12:15], v[12:13], off
	v_add_co_ci_u32_e32 v21, vcc_lo, s11, v1, vcc_lo
	v_add_co_u32 v24, vcc_lo, v20, s10
	global_load_b128 v[16:19], v[0:1], off
	v_add_co_ci_u32_e32 v25, vcc_lo, s11, v21, vcc_lo
	v_add_co_u32 v30, vcc_lo, v24, s2
	s_delay_alu instid0(VALU_DEP_2) | instskip(NEXT) | instid1(VALU_DEP_2)
	v_add_co_ci_u32_e32 v31, vcc_lo, s3, v25, vcc_lo
	v_add_co_u32 v0, vcc_lo, v30, s10
	s_clause 0x1
	global_load_b128 v[20:23], v[20:21], off
	global_load_b128 v[24:27], v[24:25], off
	v_add_co_ci_u32_e32 v1, vcc_lo, s11, v31, vcc_lo
	v_add_co_u32 v33, vcc_lo, v0, s10
	global_load_b128 v[60:63], v[30:31], off
	v_add_co_ci_u32_e32 v34, vcc_lo, s11, v1, vcc_lo
	v_add_co_u32 v30, vcc_lo, v33, s2
	;; [unrolled: 3-line block ×7, first 2 shown]
	global_load_b128 v[84:87], v[30:31], off
	global_load_b128 v[180:183], v29, s[16:17] offset:4032
	global_load_b128 v[88:91], v[35:36], off
	v_add_co_ci_u32_e32 v1, vcc_lo, s11, v36, vcc_lo
	scratch_store_b64 off, v[37:38], off offset:64 ; 8-byte Folded Spill
	global_load_b128 v[184:187], v[37:38], off offset:2240
	global_load_b128 v[92:95], v[0:1], off
	v_cmp_eq_u32_e32 vcc_lo, 1, v3
	s_load_b128 s[4:7], s[6:7], 0x0
	v_cndmask_b32_e64 v28, 0, 0x1b0, vcc_lo
	v_cmp_gt_u16_e32 vcc_lo, 9, v2
	s_waitcnt vmcnt(29)
	scratch_store_b128 off, v[51:54], off offset:16 ; 16-byte Folded Spill
	s_waitcnt vmcnt(28)
	scratch_store_b128 off, v[136:139], off offset:48 ; 16-byte Folded Spill
	;; [unrolled: 2-line block ×6, first 2 shown]
	s_waitcnt vmcnt(22)
	s_clause 0x1
	scratch_store_b128 off, v[168:171], off offset:184
	scratch_store_b128 off, v[152:155], off offset:120
	s_waitcnt vmcnt(21)
	scratch_store_b128 off, v[156:159], off offset:136 ; 16-byte Folded Spill
	s_waitcnt vmcnt(20)
	scratch_store_b128 off, v[176:179], off offset:216 ; 16-byte Folded Spill
	;; [unrolled: 2-line block ×5, first 2 shown]
	s_waitcnt vmcnt(15)
	v_mul_f64 v[30:31], v[10:11], v[53:54]
	v_mul_f64 v[33:34], v[8:9], v[53:54]
	s_waitcnt vmcnt(14)
	v_mul_f64 v[39:40], v[14:15], v[170:171]
	v_mul_f64 v[41:42], v[12:13], v[170:171]
	;; [unrolled: 1-line block ×4, first 2 shown]
	s_waitcnt vmcnt(13)
	v_mul_f64 v[43:44], v[18:19], v[138:139]
	v_mul_f64 v[45:46], v[16:17], v[138:139]
	s_waitcnt vmcnt(12)
	v_mul_f64 v[47:48], v[22:23], v[57:58]
	s_waitcnt vmcnt(11)
	v_mul_f64 v[96:97], v[26:27], v[174:175]
	v_mul_f64 v[98:99], v[24:25], v[174:175]
	;; [unrolled: 1-line block ×3, first 2 shown]
	s_waitcnt vmcnt(10)
	v_mul_f64 v[100:101], v[62:63], v[146:147]
	v_mul_f64 v[102:103], v[60:61], v[146:147]
	s_waitcnt vmcnt(9)
	v_mul_f64 v[104:105], v[66:67], v[142:143]
	v_mul_f64 v[106:107], v[64:65], v[142:143]
	;; [unrolled: 3-line block ×4, first 2 shown]
	v_fma_f64 v[8:9], v[8:9], v[51:52], v[30:31]
	v_fma_f64 v[10:11], v[10:11], v[51:52], -v[33:34]
	v_fma_f64 v[12:13], v[12:13], v[168:169], v[39:40]
	s_waitcnt vmcnt(6)
	v_mul_f64 v[116:117], v[78:79], v[154:155]
	v_mul_f64 v[118:119], v[76:77], v[154:155]
	v_fma_f64 v[14:15], v[14:15], v[168:169], -v[41:42]
	v_fma_f64 v[16:17], v[16:17], v[136:137], v[43:44]
	v_fma_f64 v[18:19], v[18:19], v[136:137], -v[45:46]
	s_waitcnt vmcnt(5)
	v_mul_f64 v[120:121], v[82:83], v[162:163]
	v_mul_f64 v[122:123], v[80:81], v[162:163]
	v_fma_f64 v[4:5], v[4:5], v[176:177], v[35:36]
	s_waitcnt vmcnt(4)
	v_mul_f64 v[124:125], v[86:87], v[158:159]
	v_mul_f64 v[126:127], v[84:85], v[158:159]
	s_waitcnt vmcnt(2)
	v_mul_f64 v[128:129], v[90:91], v[182:183]
	v_mul_f64 v[130:131], v[88:89], v[182:183]
	v_fma_f64 v[6:7], v[6:7], v[176:177], -v[37:38]
	v_fma_f64 v[24:25], v[24:25], v[172:173], v[96:97]
	v_fma_f64 v[26:27], v[26:27], v[172:173], -v[98:99]
	s_waitcnt vmcnt(0)
	v_mul_f64 v[132:133], v[94:95], v[186:187]
	v_mul_f64 v[134:135], v[92:93], v[186:187]
	v_fma_f64 v[20:21], v[20:21], v[55:56], v[47:48]
	v_fma_f64 v[22:23], v[22:23], v[55:56], -v[49:50]
	v_fma_f64 v[60:61], v[60:61], v[144:145], v[100:101]
	v_fma_f64 v[62:63], v[62:63], v[144:145], -v[102:103]
	v_lshlrev_b32_e32 v49, 4, v28
	scratch_store_b128 off, v[180:183], off offset:232 ; 16-byte Folded Spill
	v_fma_f64 v[64:65], v[64:65], v[140:141], v[104:105]
	v_fma_f64 v[66:67], v[66:67], v[140:141], -v[106:107]
	scratch_store_b128 off, v[184:187], off offset:248 ; 16-byte Folded Spill
	v_add_nc_u32_e32 v34, v49, v29
	v_fma_f64 v[68:69], v[68:69], v[164:165], v[108:109]
	v_fma_f64 v[70:71], v[70:71], v[164:165], -v[110:111]
	v_fma_f64 v[72:73], v[72:73], v[148:149], v[112:113]
	v_fma_f64 v[74:75], v[74:75], v[148:149], -v[114:115]
	;; [unrolled: 2-line block ×4, first 2 shown]
	ds_store_b128 v34, v[8:11]
	ds_store_b128 v34, v[16:19] offset:432
	ds_store_b128 v34, v[4:7] offset:4608
	;; [unrolled: 1-line block ×9, first 2 shown]
	v_fma_f64 v[84:85], v[84:85], v[156:157], v[124:125]
	v_fma_f64 v[86:87], v[86:87], v[156:157], -v[126:127]
	v_fma_f64 v[88:89], v[88:89], v[180:181], v[128:129]
	v_fma_f64 v[90:91], v[90:91], v[180:181], -v[130:131]
	;; [unrolled: 2-line block ×3, first 2 shown]
	ds_store_b128 v34, v[12:15] offset:2304
	ds_store_b128 v34, v[84:87] offset:1728
	;; [unrolled: 1-line block ×5, first 2 shown]
	s_and_saveexec_b32 s12, vcc_lo
	s_cbranch_execz .LBB0_3
; %bb.2:
	scratch_load_b64 v[4:5], off, off       ; 8-byte Folded Reload
	v_add_co_u32 v0, s2, v0, s2
	s_delay_alu instid0(VALU_DEP_1) | instskip(NEXT) | instid1(VALU_DEP_2)
	v_add_co_ci_u32_e64 v1, s2, s3, v1, s2
	v_add_co_u32 v8, s2, v0, s10
	s_delay_alu instid0(VALU_DEP_1) | instskip(SKIP_2) | instid1(VALU_DEP_1)
	v_add_co_ci_u32_e64 v9, s2, s11, v1, s2
	global_load_b128 v[0:3], v[0:1], off
	v_add_co_u32 v20, s2, v8, s10
	v_add_co_ci_u32_e64 v21, s2, s11, v9, s2
	s_waitcnt vmcnt(1)
	global_load_b128 v[4:7], v[4:5], off offset:2160
	global_load_b128 v[8:11], v[8:9], off
	scratch_load_b64 v[16:17], off, off offset:64 ; 8-byte Folded Reload
	s_waitcnt vmcnt(0)
	s_clause 0x1
	global_load_b128 v[12:15], v[16:17], off offset:368
	global_load_b128 v[16:19], v[16:17], off offset:2672
	global_load_b128 v[20:23], v[20:21], off
	v_mul_f64 v[24:25], v[2:3], v[6:7]
	v_mul_f64 v[6:7], v[0:1], v[6:7]
	s_delay_alu instid0(VALU_DEP_2) | instskip(NEXT) | instid1(VALU_DEP_2)
	v_fma_f64 v[0:1], v[0:1], v[4:5], v[24:25]
	v_fma_f64 v[2:3], v[2:3], v[4:5], -v[6:7]
	s_waitcnt vmcnt(2)
	v_mul_f64 v[26:27], v[10:11], v[14:15]
	v_mul_f64 v[14:15], v[8:9], v[14:15]
	s_waitcnt vmcnt(0)
	v_mul_f64 v[35:36], v[22:23], v[18:19]
	v_mul_f64 v[18:19], v[20:21], v[18:19]
	s_delay_alu instid0(VALU_DEP_4) | instskip(NEXT) | instid1(VALU_DEP_4)
	v_fma_f64 v[4:5], v[8:9], v[12:13], v[26:27]
	v_fma_f64 v[6:7], v[10:11], v[12:13], -v[14:15]
	s_delay_alu instid0(VALU_DEP_4) | instskip(NEXT) | instid1(VALU_DEP_4)
	v_fma_f64 v[8:9], v[20:21], v[16:17], v[35:36]
	v_fma_f64 v[10:11], v[22:23], v[16:17], -v[18:19]
	ds_store_b128 v34, v[0:3] offset:2160
	ds_store_b128 v34, v[4:7] offset:4464
	;; [unrolled: 1-line block ×3, first 2 shown]
.LBB0_3:
	s_or_b32 exec_lo, exec_lo, s12
	s_waitcnt lgkmcnt(0)
	s_waitcnt_vscnt null, 0x0
	s_barrier
	buffer_gl0_inv
	ds_load_b128 v[20:23], v34
	ds_load_b128 v[16:19], v34 offset:432
	ds_load_b128 v[0:3], v34 offset:4608
	;; [unrolled: 1-line block ×14, first 2 shown]
                                        ; implicit-def: $vgpr60_vgpr61
                                        ; implicit-def: $vgpr64_vgpr65
                                        ; implicit-def: $vgpr68_vgpr69
	s_and_saveexec_b32 s2, vcc_lo
	s_cbranch_execz .LBB0_5
; %bb.4:
	ds_load_b128 v[60:63], v34 offset:2160
	ds_load_b128 v[64:67], v34 offset:4464
	;; [unrolled: 1-line block ×3, first 2 shown]
.LBB0_5:
	s_or_b32 exec_lo, exec_lo, s2
	s_waitcnt lgkmcnt(4)
	v_add_f64 v[35:36], v[100:101], v[0:1]
	v_add_f64 v[37:38], v[102:103], v[2:3]
	v_add_f64 v[39:40], v[88:89], v[72:73]
	v_add_f64 v[41:42], v[90:91], v[74:75]
	v_add_f64 v[43:44], v[84:85], v[4:5]
	v_add_f64 v[45:46], v[86:87], v[6:7]
	s_waitcnt lgkmcnt(2)
	v_add_f64 v[47:48], v[96:97], v[8:9]
	v_add_f64 v[50:51], v[98:99], v[10:11]
	s_waitcnt lgkmcnt(0)
	v_add_f64 v[104:105], v[92:93], v[12:13]
	v_add_f64 v[106:107], v[94:95], v[14:15]
	;; [unrolled: 1-line block ×5, first 2 shown]
	v_add_f64 v[114:115], v[102:103], -v[2:3]
	v_add_f64 v[102:103], v[22:23], v[102:103]
	v_add_f64 v[100:101], v[100:101], -v[0:1]
	v_add_f64 v[116:117], v[16:17], v[88:89]
	v_add_f64 v[118:119], v[18:19], v[90:91]
	;; [unrolled: 1-line block ×6, first 2 shown]
	v_add_f64 v[90:91], v[90:91], -v[74:75]
	v_add_f64 v[88:89], v[88:89], -v[72:73]
	;; [unrolled: 1-line block ×9, first 2 shown]
	v_add_f64 v[128:129], v[76:77], v[92:93]
	v_add_f64 v[130:131], v[78:79], v[94:95]
	s_load_b64 s[2:3], s[0:1], 0x8
	v_add_co_u32 v31, s0, v32, 27
	s_delay_alu instid0(VALU_DEP_1)
	v_add_co_ci_u32_e64 v200, null, 0, 0, s0
	v_fma_f64 v[35:36], v[35:36], -0.5, v[20:21]
	v_fma_f64 v[37:38], v[37:38], -0.5, v[22:23]
	;; [unrolled: 1-line block ×8, first 2 shown]
	v_add_f64 v[50:51], v[92:93], -v[12:13]
	v_fma_f64 v[140:141], v[104:105], -0.5, v[76:77]
	v_fma_f64 v[144:145], v[106:107], -0.5, v[78:79]
	;; [unrolled: 1-line block ×4, first 2 shown]
	s_mov_b32 s0, 0xe8584caa
	s_mov_b32 s1, 0x3febb67a
	;; [unrolled: 1-line block ×4, first 2 shown]
	v_add_f64 v[0:1], v[112:113], v[0:1]
	v_add_f64 v[2:3], v[102:103], v[2:3]
	;; [unrolled: 1-line block ×8, first 2 shown]
	v_add_co_u32 v16, null, v32, 54
	v_add_co_u32 v6, null, 0x6c, v32
	s_waitcnt lgkmcnt(0)
	s_barrier
	v_add_f64 v[12:13], v[128:129], v[12:13]
	v_add_f64 v[14:15], v[130:131], v[14:15]
	v_mul_u32_u24_e32 v27, 3, v16
	buffer_gl0_inv
	v_fma_f64 v[72:73], v[114:115], s[0:1], v[35:36]
	v_fma_f64 v[74:75], v[100:101], s[10:11], v[37:38]
	;; [unrolled: 1-line block ×24, first 2 shown]
	v_mul_lo_u16 v25, v32, 3
	v_add_co_u32 v7, s0, 0x51, v32
	s_delay_alu instid0(VALU_DEP_1) | instskip(NEXT) | instid1(VALU_DEP_3)
	v_add_co_ci_u32_e64 v4, null, 0, 0, s0
	v_and_b32_e32 v25, 0xffff, v25
	v_add_co_u32 v4, s0, 0x87, v32
	v_mul_u32_u24_e32 v26, 3, v31
	v_add_co_ci_u32_e64 v5, null, 0, 0, s0
	s_delay_alu instid0(VALU_DEP_4)
	v_lshl_add_u32 v33, v25, 4, v49
	v_mul_u32_u24_e32 v25, 3, v7
	ds_store_b128 v33, v[0:3]
	ds_store_b128 v33, v[72:75] offset:16
	v_mul_u32_u24_e32 v0, 3, v6
	v_lshl_add_u32 v30, v26, 4, v49
	v_lshl_add_u32 v26, v27, 4, v49
	;; [unrolled: 1-line block ×3, first 2 shown]
	v_mul_u32_u24_e32 v1, 3, v4
	v_lshl_add_u32 v0, v0, 4, v49
	scratch_store_b32 off, v33, off offset:280 ; 4-byte Folded Spill
	ds_store_b128 v33, v[76:79] offset:32
	ds_store_b128 v30, v[17:20]
	ds_store_b128 v30, v[80:83] offset:16
	scratch_store_b32 off, v30, off offset:276 ; 4-byte Folded Spill
	ds_store_b128 v30, v[84:87] offset:32
	ds_store_b128 v26, v[21:24]
	ds_store_b128 v26, v[88:91] offset:16
	;; [unrolled: 4-line block ×3, first 2 shown]
	s_clause 0x1
	scratch_store_b32 off, v1, off offset:312
	scratch_store_b32 off, v2, off offset:268
	ds_store_b128 v2, v[100:103] offset:32
	ds_store_b128 v0, v[12:15]
	ds_store_b128 v0, v[104:107] offset:16
	scratch_store_b32 off, v0, off offset:264 ; 4-byte Folded Spill
	ds_store_b128 v0, v[108:111] offset:32
	s_and_saveexec_b32 s0, vcc_lo
	s_cbranch_execz .LBB0_7
; %bb.6:
	v_add_f64 v[0:1], v[62:63], v[66:67]
	v_add_f64 v[8:9], v[60:61], v[64:65]
	s_delay_alu instid0(VALU_DEP_2) | instskip(NEXT) | instid1(VALU_DEP_2)
	v_add_f64 v[2:3], v[0:1], v[70:71]
	v_add_f64 v[0:1], v[8:9], v[68:69]
	v_mul_u32_u24_e32 v8, 3, v4
	s_delay_alu instid0(VALU_DEP_1)
	v_lshl_add_u32 v8, v8, 4, v49
	ds_store_b128 v8, v[0:3]
	ds_store_b128 v8, v[156:159] offset:16
	ds_store_b128 v8, v[164:167] offset:32
.LBB0_7:
	s_or_b32 exec_lo, exec_lo, s0
	v_and_b32_e32 v0, 0xff, v32
	s_waitcnt lgkmcnt(0)
	s_waitcnt_vscnt null, 0x0
	s_barrier
	buffer_gl0_inv
	s_mov_b32 s0, 0x667f3bcd
	v_mul_lo_u16 v0, 0xab, v0
	s_mov_b32 s1, 0xbfe6a09e
	s_mov_b32 s11, 0x3fe6a09e
	;; [unrolled: 1-line block ×4, first 2 shown]
	v_lshrrev_b16 v8, 9, v0
	s_mov_b32 s13, 0xbfed906b
	s_mov_b32 s21, 0x3fed906b
	;; [unrolled: 1-line block ×4, first 2 shown]
	v_mul_lo_u16 v0, v8, 3
	s_mov_b32 s15, 0xbfd87de2
	s_mov_b32 s19, 0x3fd87de2
	;; [unrolled: 1-line block ×3, first 2 shown]
	v_and_b32_e32 v8, 0xffff, v8
	v_sub_nc_u16 v0, v32, v0
	s_delay_alu instid0(VALU_DEP_2) | instskip(NEXT) | instid1(VALU_DEP_2)
	v_mul_u32_u24_e32 v8, 48, v8
	v_and_b32_e32 v9, 0xff, v0
	s_delay_alu instid0(VALU_DEP_1) | instskip(NEXT) | instid1(VALU_DEP_3)
	v_mad_u64_u32 v[14:15], null, 0xf0, v9, s[2:3]
	v_or_b32_e32 v8, v8, v9
	s_clause 0x3
	global_load_b128 v[68:71], v[14:15], off
	global_load_b128 v[64:67], v[14:15], off offset:16
	global_load_b128 v[60:63], v[14:15], off offset:32
	;; [unrolled: 1-line block ×3, first 2 shown]
	ds_load_b128 v[0:3], v34 offset:432
	ds_load_b128 v[10:13], v34
	ds_load_b128 v[17:20], v34 offset:864
	ds_load_b128 v[21:24], v34 offset:1296
	v_lshl_add_u32 v33, v8, 4, v49
	s_waitcnt vmcnt(3) lgkmcnt(3)
	v_mul_f64 v[25:26], v[2:3], v[70:71]
	v_mul_f64 v[35:36], v[0:1], v[70:71]
	s_delay_alu instid0(VALU_DEP_2) | instskip(NEXT) | instid1(VALU_DEP_2)
	v_fma_f64 v[25:26], v[0:1], v[68:69], -v[25:26]
	v_fma_f64 v[35:36], v[2:3], v[68:69], v[35:36]
	s_waitcnt vmcnt(2) lgkmcnt(1)
	v_mul_f64 v[0:1], v[19:20], v[66:67]
	v_mul_f64 v[2:3], v[17:18], v[66:67]
	s_delay_alu instid0(VALU_DEP_2) | instskip(NEXT) | instid1(VALU_DEP_2)
	v_fma_f64 v[37:38], v[17:18], v[64:65], -v[0:1]
	v_fma_f64 v[39:40], v[19:20], v[64:65], v[2:3]
	;; [unrolled: 6-line block ×3, first 2 shown]
	ds_load_b128 v[0:3], v34 offset:1728
	ds_load_b128 v[17:20], v34 offset:2160
	s_clause 0x1
	global_load_b128 v[96:99], v[14:15], off offset:64
	global_load_b128 v[80:83], v[14:15], off offset:80
	s_waitcnt vmcnt(2) lgkmcnt(1)
	v_mul_f64 v[21:22], v[2:3], v[74:75]
	s_delay_alu instid0(VALU_DEP_1) | instskip(SKIP_1) | instid1(VALU_DEP_1)
	v_fma_f64 v[45:46], v[0:1], v[72:73], -v[21:22]
	v_mul_f64 v[0:1], v[0:1], v[74:75]
	v_fma_f64 v[47:48], v[2:3], v[72:73], v[0:1]
	s_waitcnt vmcnt(1) lgkmcnt(0)
	v_mul_f64 v[0:1], v[19:20], v[98:99]
	s_delay_alu instid0(VALU_DEP_1) | instskip(SKIP_1) | instid1(VALU_DEP_1)
	v_fma_f64 v[50:51], v[17:18], v[96:97], -v[0:1]
	v_mul_f64 v[0:1], v[17:18], v[98:99]
	v_fma_f64 v[124:125], v[19:20], v[96:97], v[0:1]
	ds_load_b128 v[0:3], v34 offset:2592
	ds_load_b128 v[17:20], v34 offset:3024
	s_clause 0x1
	global_load_b128 v[100:103], v[14:15], off offset:96
	global_load_b128 v[84:87], v[14:15], off offset:112
	s_waitcnt vmcnt(2) lgkmcnt(1)
	v_mul_f64 v[21:22], v[2:3], v[82:83]
	s_delay_alu instid0(VALU_DEP_1) | instskip(SKIP_1) | instid1(VALU_DEP_1)
	v_fma_f64 v[126:127], v[0:1], v[80:81], -v[21:22]
	v_mul_f64 v[0:1], v[0:1], v[82:83]
	v_fma_f64 v[128:129], v[2:3], v[80:81], v[0:1]
	s_waitcnt vmcnt(1) lgkmcnt(0)
	v_mul_f64 v[0:1], v[19:20], v[102:103]
	s_delay_alu instid0(VALU_DEP_1) | instskip(SKIP_1) | instid1(VALU_DEP_1)
	v_fma_f64 v[130:131], v[17:18], v[100:101], -v[0:1]
	v_mul_f64 v[0:1], v[17:18], v[102:103]
	v_fma_f64 v[132:133], v[19:20], v[100:101], v[0:1]
	ds_load_b128 v[0:3], v34 offset:3456
	ds_load_b128 v[17:20], v34 offset:3888
	global_load_b128 v[104:107], v[14:15], off offset:176
	s_waitcnt vmcnt(1) lgkmcnt(1)
	v_mul_f64 v[21:22], v[2:3], v[86:87]
	s_delay_alu instid0(VALU_DEP_1) | instskip(SKIP_1) | instid1(VALU_DEP_1)
	v_fma_f64 v[134:135], v[0:1], v[84:85], -v[21:22]
	v_mul_f64 v[0:1], v[0:1], v[86:87]
	v_fma_f64 v[136:137], v[2:3], v[84:85], v[0:1]
	ds_load_b128 v[0:3], v34 offset:5184
	ds_load_b128 v[21:24], v34 offset:5616
	s_clause 0x1
	global_load_b128 v[76:79], v[14:15], off offset:160
	global_load_b128 v[108:111], v[14:15], off offset:144
	s_waitcnt vmcnt(2) lgkmcnt(1)
	v_mul_f64 v[88:89], v[2:3], v[106:107]
	s_delay_alu instid0(VALU_DEP_1) | instskip(SKIP_1) | instid1(VALU_DEP_1)
	v_fma_f64 v[138:139], v[0:1], v[104:105], -v[88:89]
	v_mul_f64 v[0:1], v[0:1], v[106:107]
	v_fma_f64 v[140:141], v[2:3], v[104:105], v[0:1]
	ds_load_b128 v[0:3], v34 offset:4320
	ds_load_b128 v[116:119], v34 offset:4752
	global_load_b128 v[88:91], v[14:15], off offset:128
	s_waitcnt vmcnt(1) lgkmcnt(1)
	v_mul_f64 v[92:93], v[2:3], v[110:111]
	s_delay_alu instid0(VALU_DEP_1) | instskip(SKIP_4) | instid1(VALU_DEP_1)
	v_fma_f64 v[142:143], v[0:1], v[108:109], -v[92:93]
	s_clause 0x1
	global_load_b128 v[112:115], v[14:15], off offset:208
	global_load_b128 v[92:95], v[14:15], off offset:192
	v_mul_f64 v[0:1], v[0:1], v[110:111]
	v_fma_f64 v[144:145], v[2:3], v[108:109], v[0:1]
	ds_load_b128 v[0:3], v34 offset:6048
	ds_load_b128 v[120:123], v34 offset:6480
	s_waitcnt vmcnt(1) lgkmcnt(1)
	v_mul_f64 v[146:147], v[2:3], v[114:115]
	s_delay_alu instid0(VALU_DEP_1) | instskip(SKIP_1) | instid1(VALU_DEP_1)
	v_fma_f64 v[146:147], v[0:1], v[112:113], -v[146:147]
	v_mul_f64 v[0:1], v[0:1], v[114:115]
	v_fma_f64 v[148:149], v[2:3], v[112:113], v[0:1]
	v_mul_f64 v[0:1], v[19:20], v[90:91]
	v_add_f64 v[2:3], v[12:13], -v[136:137]
	s_delay_alu instid0(VALU_DEP_2) | instskip(SKIP_1) | instid1(VALU_DEP_3)
	v_fma_f64 v[150:151], v[17:18], v[88:89], -v[0:1]
	v_mul_f64 v[0:1], v[17:18], v[90:91]
	v_fma_f64 v[136:137], v[12:13], 2.0, -v[2:3]
	s_delay_alu instid0(VALU_DEP_2) | instskip(SKIP_2) | instid1(VALU_DEP_1)
	v_fma_f64 v[17:18], v[19:20], v[88:89], v[0:1]
	s_waitcnt vmcnt(0)
	v_mul_f64 v[0:1], v[23:24], v[94:95]
	v_fma_f64 v[19:20], v[21:22], v[92:93], -v[0:1]
	v_mul_f64 v[0:1], v[21:22], v[94:95]
	s_delay_alu instid0(VALU_DEP_2) | instskip(NEXT) | instid1(VALU_DEP_2)
	v_add_f64 v[154:155], v[50:51], -v[19:20]
	v_fma_f64 v[21:22], v[23:24], v[92:93], v[0:1]
	v_mul_f64 v[0:1], v[118:119], v[78:79]
	s_delay_alu instid0(VALU_DEP_2) | instskip(NEXT) | instid1(VALU_DEP_2)
	v_add_f64 v[21:22], v[124:125], -v[21:22]
	v_fma_f64 v[23:24], v[116:117], v[76:77], -v[0:1]
	v_mul_f64 v[0:1], v[116:117], v[78:79]
	s_delay_alu instid0(VALU_DEP_2) | instskip(NEXT) | instid1(VALU_DEP_2)
	v_add_f64 v[160:161], v[41:42], -v[23:24]
	v_fma_f64 v[152:153], v[118:119], v[76:77], v[0:1]
	global_load_b128 v[116:119], v[14:15], off offset:224
	s_waitcnt vmcnt(0) lgkmcnt(0)
	s_barrier
	buffer_gl0_inv
	v_fma_f64 v[41:42], v[41:42], 2.0, -v[160:161]
	v_add_f64 v[152:153], v[43:44], -v[152:153]
	s_delay_alu instid0(VALU_DEP_1) | instskip(SKIP_1) | instid1(VALU_DEP_1)
	v_fma_f64 v[43:44], v[43:44], 2.0, -v[152:153]
	v_mul_f64 v[0:1], v[120:121], v[118:119]
	v_fma_f64 v[14:15], v[122:123], v[116:117], v[0:1]
	v_mul_f64 v[0:1], v[122:123], v[118:119]
	v_add_f64 v[122:123], v[45:46], -v[138:139]
	v_add_f64 v[138:139], v[47:48], -v[140:141]
	;; [unrolled: 1-line block ×9, first 2 shown]
	v_fma_f64 v[120:121], v[120:121], v[116:117], -v[0:1]
	v_add_f64 v[0:1], v[10:11], -v[134:135]
	v_fma_f64 v[12:13], v[47:48], 2.0, -v[138:139]
	v_fma_f64 v[37:38], v[37:38], 2.0, -v[140:141]
	;; [unrolled: 1-line block ×8, first 2 shown]
	v_add_f64 v[23:24], v[130:131], -v[120:121]
	v_fma_f64 v[134:135], v[10:11], 2.0, -v[0:1]
	v_fma_f64 v[10:11], v[45:46], 2.0, -v[122:123]
	;; [unrolled: 1-line block ×4, first 2 shown]
	v_add_f64 v[162:163], v[136:137], -v[12:13]
	v_add_f64 v[168:169], v[37:38], -v[17:18]
	;; [unrolled: 1-line block ×4, first 2 shown]
	v_add_f64 v[122:123], v[2:3], v[122:123]
	v_add_f64 v[14:15], v[160:161], -v[14:15]
	v_fma_f64 v[120:121], v[130:131], 2.0, -v[23:24]
	v_add_f64 v[130:131], v[142:143], v[144:145]
	v_add_f64 v[132:133], v[134:135], -v[10:11]
	v_add_f64 v[45:46], v[25:26], -v[45:46]
	;; [unrolled: 1-line block ×3, first 2 shown]
	v_add_f64 v[144:145], v[150:151], v[154:155]
	v_add_f64 v[126:127], v[162:163], v[168:169]
	v_fma_f64 v[35:36], v[35:36], 2.0, -v[47:48]
	v_add_f64 v[172:173], v[41:42], -v[120:121]
	v_add_f64 v[124:125], v[132:133], -v[170:171]
	v_fma_f64 v[8:9], v[134:135], 2.0, -v[132:133]
	v_add_f64 v[17:18], v[45:46], -v[50:51]
	v_fma_f64 v[25:26], v[25:26], 2.0, -v[45:46]
	v_fma_f64 v[180:181], v[162:163], 2.0, -v[126:127]
	v_add_f64 v[19:20], v[47:48], v[172:173]
	v_fma_f64 v[174:175], v[132:133], 2.0, -v[124:125]
	v_fma_f64 v[10:11], v[17:18], s[10:11], v[124:125]
	v_fma_f64 v[120:121], v[45:46], 2.0, -v[17:18]
	s_delay_alu instid0(VALU_DEP_4) | instskip(NEXT) | instid1(VALU_DEP_3)
	v_fma_f64 v[12:13], v[19:20], s[10:11], v[126:127]
	v_fma_f64 v[10:11], v[19:20], s[0:1], v[10:11]
	s_delay_alu instid0(VALU_DEP_2) | instskip(SKIP_2) | instid1(VALU_DEP_4)
	v_fma_f64 v[12:13], v[17:18], s[10:11], v[12:13]
	v_fma_f64 v[17:18], v[47:48], 2.0, -v[19:20]
	v_fma_f64 v[19:20], v[120:121], s[0:1], v[174:175]
	v_fma_f64 v[124:125], v[124:125], 2.0, -v[10:11]
	s_delay_alu instid0(VALU_DEP_4) | instskip(NEXT) | instid1(VALU_DEP_4)
	v_fma_f64 v[126:127], v[126:127], 2.0, -v[12:13]
	v_fma_f64 v[128:129], v[17:18], s[0:1], v[180:181]
	s_delay_alu instid0(VALU_DEP_4) | instskip(NEXT) | instid1(VALU_DEP_2)
	v_fma_f64 v[17:18], v[17:18], s[0:1], v[19:20]
	v_fma_f64 v[19:20], v[120:121], s[10:11], v[128:129]
	v_add_f64 v[120:121], v[0:1], -v[138:139]
	v_add_f64 v[128:129], v[140:141], -v[146:147]
	;; [unrolled: 1-line block ×3, first 2 shown]
	v_add_f64 v[146:147], v[152:153], v[23:24]
	s_delay_alu instid0(VALU_DEP_3) | instskip(NEXT) | instid1(VALU_DEP_2)
	v_fma_f64 v[21:22], v[128:129], s[10:11], v[120:121]
	v_fma_f64 v[23:24], v[146:147], s[10:11], v[144:145]
	s_delay_alu instid0(VALU_DEP_2) | instskip(SKIP_1) | instid1(VALU_DEP_3)
	v_fma_f64 v[154:155], v[130:131], s[0:1], v[21:22]
	v_fma_f64 v[21:22], v[130:131], s[10:11], v[122:123]
	;; [unrolled: 1-line block ×3, first 2 shown]
	s_delay_alu instid0(VALU_DEP_3) | instskip(NEXT) | instid1(VALU_DEP_3)
	v_fma_f64 v[186:187], v[120:121], 2.0, -v[154:155]
	v_fma_f64 v[182:183], v[128:129], s[10:11], v[21:22]
	v_fma_f64 v[21:22], v[14:15], s[10:11], v[138:139]
	v_fma_f64 v[14:15], v[160:161], 2.0, -v[14:15]
	v_fma_f64 v[120:121], v[0:1], 2.0, -v[120:121]
	;; [unrolled: 1-line block ×5, first 2 shown]
	v_fma_f64 v[21:22], v[146:147], s[0:1], v[21:22]
	v_fma_f64 v[122:123], v[2:3], 2.0, -v[122:123]
	v_fma_f64 v[2:3], v[142:143], 2.0, -v[130:131]
	;; [unrolled: 1-line block ×3, first 2 shown]
	v_fma_f64 v[178:179], v[23:24], s[20:21], v[182:183]
	v_fma_f64 v[184:185], v[138:139], 2.0, -v[21:22]
	v_fma_f64 v[138:139], v[148:149], 2.0, -v[138:139]
	v_fma_f64 v[176:177], v[21:22], s[20:21], v[154:155]
	s_delay_alu instid0(VALU_DEP_4) | instskip(SKIP_1) | instid1(VALU_DEP_4)
	v_fma_f64 v[178:179], v[21:22], s[18:19], v[178:179]
	v_fma_f64 v[21:22], v[144:145], 2.0, -v[23:24]
	v_fma_f64 v[140:141], v[14:15], s[0:1], v[138:139]
	s_delay_alu instid0(VALU_DEP_4) | instskip(SKIP_1) | instid1(VALU_DEP_4)
	v_fma_f64 v[176:177], v[23:24], s[14:15], v[176:177]
	v_fma_f64 v[23:24], v[184:185], s[14:15], v[186:187]
	v_fma_f64 v[190:191], v[21:22], s[14:15], v[188:189]
	s_delay_alu instid0(VALU_DEP_4) | instskip(SKIP_1) | instid1(VALU_DEP_4)
	v_fma_f64 v[140:141], v[130:131], s[0:1], v[140:141]
	v_fma_f64 v[130:131], v[130:131], s[0:1], v[128:129]
	;; [unrolled: 1-line block ×3, first 2 shown]
	s_delay_alu instid0(VALU_DEP_4) | instskip(NEXT) | instid1(VALU_DEP_3)
	v_fma_f64 v[23:24], v[184:185], s[20:21], v[190:191]
	v_fma_f64 v[14:15], v[14:15], s[10:11], v[130:131]
	;; [unrolled: 1-line block ×3, first 2 shown]
	s_delay_alu instid0(VALU_DEP_1) | instskip(SKIP_2) | instid1(VALU_DEP_2)
	v_fma_f64 v[142:143], v[0:1], s[10:11], v[130:131]
	v_fma_f64 v[0:1], v[0:1], s[0:1], v[120:121]
	v_fma_f64 v[130:131], v[138:139], 2.0, -v[140:141]
	v_fma_f64 v[144:145], v[2:3], s[0:1], v[0:1]
	s_delay_alu instid0(VALU_DEP_4) | instskip(NEXT) | instid1(VALU_DEP_2)
	v_fma_f64 v[0:1], v[14:15], s[18:19], v[142:143]
	v_fma_f64 v[138:139], v[140:141], s[18:19], v[144:145]
	s_delay_alu instid0(VALU_DEP_2) | instskip(SKIP_1) | instid1(VALU_DEP_3)
	v_fma_f64 v[2:3], v[140:141], s[20:21], v[0:1]
	v_fma_f64 v[140:141], v[122:123], 2.0, -v[142:143]
	v_fma_f64 v[0:1], v[14:15], s[12:13], v[138:139]
	v_fma_f64 v[14:15], v[128:129], 2.0, -v[14:15]
	v_fma_f64 v[138:139], v[120:121], 2.0, -v[144:145]
	;; [unrolled: 1-line block ×3, first 2 shown]
	s_delay_alu instid0(VALU_DEP_3) | instskip(NEXT) | instid1(VALU_DEP_3)
	v_fma_f64 v[122:123], v[14:15], s[12:13], v[140:141]
	v_fma_f64 v[120:121], v[130:131], s[12:13], v[138:139]
	s_delay_alu instid0(VALU_DEP_2) | instskip(SKIP_1) | instid1(VALU_DEP_3)
	v_fma_f64 v[122:123], v[130:131], s[18:19], v[122:123]
	v_fma_f64 v[130:131], v[182:183], 2.0, -v[178:179]
	v_fma_f64 v[120:121], v[14:15], s[14:15], v[120:121]
	ds_store_b128 v33, v[124:127] offset:288
	ds_store_b128 v33, v[128:131] offset:336
	v_fma_f64 v[124:125], v[174:175], 2.0, -v[17:18]
	v_fma_f64 v[126:127], v[180:181], 2.0, -v[19:20]
	ds_store_b128 v33, v[17:20] offset:480
	ds_store_b128 v33, v[21:24] offset:528
	v_fma_f64 v[17:18], v[186:187], 2.0, -v[21:22]
	v_fma_f64 v[19:20], v[188:189], 2.0, -v[23:24]
	;; [unrolled: 1-line block ×7, first 2 shown]
	s_delay_alu instid0(VALU_DEP_4) | instskip(NEXT) | instid1(VALU_DEP_4)
	v_add_f64 v[41:42], v[8:9], -v[21:22]
	v_add_f64 v[43:44], v[14:15], -v[23:24]
	s_delay_alu instid0(VALU_DEP_4) | instskip(NEXT) | instid1(VALU_DEP_4)
	v_add_f64 v[37:38], v[35:36], -v[37:38]
	v_add_f64 v[39:40], v[25:26], -v[39:40]
	s_delay_alu instid0(VALU_DEP_4) | instskip(NEXT) | instid1(VALU_DEP_4)
	v_fma_f64 v[8:9], v[8:9], 2.0, -v[41:42]
	v_fma_f64 v[14:15], v[14:15], 2.0, -v[43:44]
	s_delay_alu instid0(VALU_DEP_4) | instskip(NEXT) | instid1(VALU_DEP_4)
	v_add_f64 v[21:22], v[41:42], -v[37:38]
	v_add_f64 v[23:24], v[43:44], v[39:40]
	s_delay_alu instid0(VALU_DEP_2) | instskip(NEXT) | instid1(VALU_DEP_2)
	v_fma_f64 v[128:129], v[41:42], 2.0, -v[21:22]
	v_fma_f64 v[130:131], v[43:44], 2.0, -v[23:24]
	ds_store_b128 v33, v[21:24] offset:576
	v_fma_f64 v[21:22], v[144:145], 2.0, -v[0:1]
	v_fma_f64 v[23:24], v[142:143], 2.0, -v[2:3]
	ds_store_b128 v33, v[0:3] offset:624
	ds_store_b128 v33, v[124:127] offset:96
	ds_store_b128 v33, v[17:20] offset:144
	ds_store_b128 v33, v[128:131] offset:192
	ds_store_b128 v33, v[21:24] offset:240
	v_fma_f64 v[0:1], v[25:26], 2.0, -v[39:40]
	v_fma_f64 v[2:3], v[35:36], 2.0, -v[37:38]
	s_delay_alu instid0(VALU_DEP_2) | instskip(NEXT) | instid1(VALU_DEP_2)
	v_add_f64 v[0:1], v[8:9], -v[0:1]
	v_add_f64 v[2:3], v[14:15], -v[2:3]
	s_delay_alu instid0(VALU_DEP_2) | instskip(NEXT) | instid1(VALU_DEP_2)
	v_fma_f64 v[17:18], v[8:9], 2.0, -v[0:1]
	v_fma_f64 v[19:20], v[14:15], 2.0, -v[2:3]
	ds_store_b128 v33, v[0:3] offset:384
	v_fma_f64 v[0:1], v[138:139], 2.0, -v[120:121]
	v_fma_f64 v[2:3], v[140:141], 2.0, -v[122:123]
	ds_store_b128 v33, v[120:123] offset:432
	ds_store_b128 v33, v[17:20]
	ds_store_b128 v33, v[0:3] offset:48
	ds_store_b128 v33, v[10:13] offset:672
	;; [unrolled: 1-line block ×3, first 2 shown]
	s_waitcnt lgkmcnt(0)
	s_barrier
	buffer_gl0_inv
	ds_load_b128 v[196:199], v34
	ds_load_b128 v[188:191], v34 offset:432
	ds_load_b128 v[124:127], v34 offset:4608
	ds_load_b128 v[144:147], v34 offset:5040
	ds_load_b128 v[148:151], v34 offset:2736
	ds_load_b128 v[136:139], v34 offset:3168
	ds_load_b128 v[192:195], v34 offset:864
	ds_load_b128 v[184:187], v34 offset:1296
	ds_load_b128 v[140:143], v34 offset:5472
	ds_load_b128 v[152:155], v34 offset:5904
	ds_load_b128 v[132:135], v34 offset:2304
	ds_load_b128 v[180:183], v34 offset:1728
	ds_load_b128 v[160:163], v34 offset:3600
	ds_load_b128 v[172:175], v34 offset:4032
	ds_load_b128 v[168:171], v34 offset:6336
	s_and_saveexec_b32 s0, vcc_lo
	s_cbranch_execz .LBB0_9
; %bb.8:
	ds_load_b128 v[176:179], v34 offset:2160
	ds_load_b128 v[156:159], v34 offset:4464
	ds_load_b128 v[164:167], v34 offset:6768
.LBB0_9:
	s_or_b32 exec_lo, exec_lo, s0
	v_lshlrev_b32_e32 v0, 5, v32
	v_add_nc_u32_e32 v3, 6, v32
	s_mov_b32 s11, 0xbfebb67a
	s_clause 0x1
	global_load_b128 v[120:123], v0, s[2:3] offset:720
	global_load_b128 v[128:131], v0, s[2:3] offset:736
	v_lshlrev_b32_e32 v14, 5, v3
	s_waitcnt vmcnt(1) lgkmcnt(4)
	v_mul_f64 v[1:2], v[134:135], v[122:123]
	s_waitcnt vmcnt(0)
	v_mul_f64 v[10:11], v[126:127], v[130:131]
	v_mul_f64 v[8:9], v[132:133], v[122:123]
	s_delay_alu instid0(VALU_DEP_3) | instskip(NEXT) | instid1(VALU_DEP_3)
	v_fma_f64 v[1:2], v[132:133], v[120:121], -v[1:2]
	v_fma_f64 v[12:13], v[124:125], v[128:129], -v[10:11]
	v_mul_f64 v[10:11], v[124:125], v[130:131]
	s_delay_alu instid0(VALU_DEP_4) | instskip(NEXT) | instid1(VALU_DEP_2)
	v_fma_f64 v[8:9], v[134:135], v[120:121], v[8:9]
	v_fma_f64 v[10:11], v[126:127], v[128:129], v[10:11]
	s_clause 0x1
	global_load_b128 v[124:127], v14, s[2:3] offset:720
	global_load_b128 v[132:135], v14, s[2:3] offset:736
	v_add_f64 v[17:18], v[8:9], v[10:11]
	s_delay_alu instid0(VALU_DEP_1) | instskip(SKIP_3) | instid1(VALU_DEP_1)
	v_fma_f64 v[19:20], v[17:18], -0.5, v[198:199]
	v_add_f64 v[17:18], v[198:199], v[8:9]
	s_waitcnt vmcnt(1)
	v_mul_f64 v[14:15], v[138:139], v[126:127]
	v_fma_f64 v[25:26], v[136:137], v[124:125], -v[14:15]
	v_mul_f64 v[14:15], v[136:137], v[126:127]
	s_delay_alu instid0(VALU_DEP_1) | instskip(SKIP_2) | instid1(VALU_DEP_1)
	v_fma_f64 v[21:22], v[138:139], v[124:125], v[14:15]
	s_waitcnt vmcnt(0)
	v_mul_f64 v[14:15], v[142:143], v[134:135]
	v_fma_f64 v[35:36], v[140:141], v[132:133], -v[14:15]
	v_mul_f64 v[14:15], v[140:141], v[134:135]
	s_delay_alu instid0(VALU_DEP_1) | instskip(SKIP_1) | instid1(VALU_DEP_1)
	v_fma_f64 v[23:24], v[142:143], v[132:133], v[14:15]
	v_add_co_u32 v14, s0, 0xffffffeb, v32
	v_add_co_ci_u32_e64 v15, null, 0, -1, s0
	v_cmp_gt_u16_e64 s0, 21, v32
	s_delay_alu instid0(VALU_DEP_1) | instskip(NEXT) | instid1(VALU_DEP_4)
	v_cndmask_b32_e64 v38, v15, v200, s0
	v_cndmask_b32_e64 v37, v14, v31, s0
	s_delay_alu instid0(VALU_DEP_1) | instskip(NEXT) | instid1(VALU_DEP_1)
	v_lshlrev_b64 v[14:15], 5, v[37:38]
	v_add_co_u32 v14, s0, s2, v14
	s_delay_alu instid0(VALU_DEP_1)
	v_add_co_ci_u32_e64 v15, s0, s3, v15, s0
	s_clause 0x1
	global_load_b128 v[136:139], v[14:15], off offset:720
	global_load_b128 v[140:143], v[14:15], off offset:736
	s_mov_b32 s0, 0xe8584caa
	s_mov_b32 s1, 0x3febb67a
	;; [unrolled: 1-line block ×3, first 2 shown]
	s_waitcnt vmcnt(1)
	v_mul_f64 v[14:15], v[150:151], v[138:139]
	s_delay_alu instid0(VALU_DEP_1) | instskip(SKIP_1) | instid1(VALU_DEP_1)
	v_fma_f64 v[38:39], v[148:149], v[136:137], -v[14:15]
	v_mul_f64 v[14:15], v[148:149], v[138:139]
	v_fma_f64 v[40:41], v[150:151], v[136:137], v[14:15]
	s_waitcnt vmcnt(0)
	v_mul_f64 v[14:15], v[146:147], v[142:143]
	s_delay_alu instid0(VALU_DEP_1) | instskip(SKIP_1) | instid1(VALU_DEP_1)
	v_fma_f64 v[42:43], v[144:145], v[140:141], -v[14:15]
	v_mul_f64 v[14:15], v[144:145], v[142:143]
	v_fma_f64 v[44:45], v[146:147], v[140:141], v[14:15]
	v_and_b32_e32 v14, 0xff, v7
	s_delay_alu instid0(VALU_DEP_1) | instskip(NEXT) | instid1(VALU_DEP_1)
	v_mul_lo_u16 v14, 0xab, v14
	v_lshrrev_b16 v27, 13, v14
	s_delay_alu instid0(VALU_DEP_1) | instskip(NEXT) | instid1(VALU_DEP_1)
	v_mul_lo_u16 v14, v27, 48
	v_sub_nc_u16 v14, v7, v14
	s_delay_alu instid0(VALU_DEP_1) | instskip(NEXT) | instid1(VALU_DEP_1)
	v_and_b32_e32 v30, 0xff, v14
	v_lshlrev_b32_e32 v14, 5, v30
	s_clause 0x1
	global_load_b128 v[144:147], v14, s[2:3] offset:720
	global_load_b128 v[148:151], v14, s[2:3] offset:736
	s_waitcnt vmcnt(1) lgkmcnt(2)
	v_mul_f64 v[14:15], v[162:163], v[146:147]
	s_delay_alu instid0(VALU_DEP_1) | instskip(SKIP_1) | instid1(VALU_DEP_1)
	v_fma_f64 v[46:47], v[160:161], v[144:145], -v[14:15]
	v_mul_f64 v[14:15], v[160:161], v[146:147]
	v_fma_f64 v[50:51], v[162:163], v[144:145], v[14:15]
	s_waitcnt vmcnt(0)
	v_mul_f64 v[14:15], v[154:155], v[150:151]
	s_delay_alu instid0(VALU_DEP_1) | instskip(SKIP_1) | instid1(VALU_DEP_1)
	v_fma_f64 v[200:201], v[152:153], v[148:149], -v[14:15]
	v_mul_f64 v[14:15], v[152:153], v[150:151]
	v_fma_f64 v[202:203], v[154:155], v[148:149], v[14:15]
	v_and_b32_e32 v14, 0xff, v6
	s_delay_alu instid0(VALU_DEP_1) | instskip(NEXT) | instid1(VALU_DEP_1)
	v_mul_lo_u16 v14, 0xab, v14
	v_lshrrev_b16 v14, 13, v14
	s_delay_alu instid0(VALU_DEP_1) | instskip(NEXT) | instid1(VALU_DEP_1)
	v_mul_lo_u16 v14, v14, 48
	v_sub_nc_u16 v14, v6, v14
	s_delay_alu instid0(VALU_DEP_1) | instskip(NEXT) | instid1(VALU_DEP_1)
	v_and_b32_e32 v48, 0xff, v14
	v_lshlrev_b32_e32 v14, 5, v48
	s_clause 0x1
	global_load_b128 v[152:155], v14, s[2:3] offset:720
	global_load_b128 v[160:163], v14, s[2:3] offset:736
	s_waitcnt vmcnt(1) lgkmcnt(1)
	v_mul_f64 v[14:15], v[174:175], v[154:155]
	s_delay_alu instid0(VALU_DEP_1) | instskip(SKIP_1) | instid1(VALU_DEP_1)
	v_fma_f64 v[208:209], v[172:173], v[152:153], -v[14:15]
	v_mul_f64 v[14:15], v[172:173], v[154:155]
	v_fma_f64 v[210:211], v[174:175], v[152:153], v[14:15]
	s_waitcnt vmcnt(0) lgkmcnt(0)
	v_mul_f64 v[14:15], v[170:171], v[162:163]
	s_delay_alu instid0(VALU_DEP_1) | instskip(SKIP_1) | instid1(VALU_DEP_1)
	v_fma_f64 v[212:213], v[168:169], v[160:161], -v[14:15]
	v_mul_f64 v[14:15], v[168:169], v[162:163]
	v_fma_f64 v[214:215], v[170:171], v[160:161], v[14:15]
	v_and_b32_e32 v14, 0xff, v4
	s_delay_alu instid0(VALU_DEP_1) | instskip(NEXT) | instid1(VALU_DEP_1)
	v_mul_lo_u16 v14, 0xab, v14
	v_lshrrev_b16 v14, 13, v14
	s_delay_alu instid0(VALU_DEP_1) | instskip(NEXT) | instid1(VALU_DEP_1)
	v_mul_lo_u16 v14, v14, 48
	v_sub_nc_u16 v14, v4, v14
	s_delay_alu instid0(VALU_DEP_1)
	v_and_b32_e32 v14, 0xff, v14
	scratch_store_b32 off, v14, off offset:284 ; 4-byte Folded Spill
	v_lshlrev_b32_e32 v14, 5, v14
	s_clause 0x1
	global_load_b128 v[168:171], v14, s[2:3] offset:720
	global_load_b128 v[172:175], v14, s[2:3] offset:736
	s_waitcnt vmcnt(0)
	s_waitcnt_vscnt null, 0x0
	s_barrier
	buffer_gl0_inv
	v_mul_f64 v[14:15], v[158:159], v[170:171]
	s_delay_alu instid0(VALU_DEP_1) | instskip(SKIP_2) | instid1(VALU_DEP_2)
	v_fma_f64 v[220:221], v[156:157], v[168:169], -v[14:15]
	v_mul_f64 v[14:15], v[156:157], v[170:171]
	v_add_f64 v[156:157], v[196:197], v[1:2]
	v_fma_f64 v[216:217], v[158:159], v[168:169], v[14:15]
	v_mul_f64 v[14:15], v[166:167], v[174:175]
	v_add_f64 v[158:159], v[8:9], -v[10:11]
	v_add_f64 v[10:11], v[17:18], v[10:11]
	v_add_f64 v[8:9], v[156:157], v[12:13]
	;; [unrolled: 1-line block ×3, first 2 shown]
	v_fma_f64 v[222:223], v[164:165], v[172:173], -v[14:15]
	v_mul_f64 v[14:15], v[164:165], v[174:175]
	v_add_f64 v[164:165], v[21:22], -v[23:24]
	s_delay_alu instid0(VALU_DEP_2) | instskip(SKIP_4) | instid1(VALU_DEP_4)
	v_fma_f64 v[218:219], v[166:167], v[172:173], v[14:15]
	v_add_f64 v[14:15], v[1:2], v[12:13]
	v_add_f64 v[1:2], v[1:2], -v[12:13]
	v_fma_f64 v[166:167], v[156:157], -0.5, v[194:195]
	v_add_f64 v[156:157], v[194:195], v[21:22]
	v_fma_f64 v[14:15], v[14:15], -0.5, v[196:197]
	s_delay_alu instid0(VALU_DEP_2) | instskip(NEXT) | instid1(VALU_DEP_2)
	v_add_f64 v[23:24], v[156:157], v[23:24]
	v_fma_f64 v[12:13], v[158:159], s[0:1], v[14:15]
	v_fma_f64 v[17:18], v[158:159], s[10:11], v[14:15]
	;; [unrolled: 1-line block ×4, first 2 shown]
	v_add_f64 v[1:2], v[25:26], v[35:36]
	v_add_f64 v[158:159], v[192:193], v[25:26]
	v_add_f64 v[25:26], v[25:26], -v[35:36]
	ds_store_b128 v34, v[8:11]
	ds_store_b128 v34, v[12:15] offset:768
	ds_store_b128 v34, v[17:20] offset:1536
	v_fma_f64 v[1:2], v[1:2], -0.5, v[192:193]
	v_add_f64 v[21:22], v[158:159], v[35:36]
	v_fma_f64 v[158:159], v[25:26], s[10:11], v[166:167]
	v_fma_f64 v[166:167], v[25:26], s[0:1], v[166:167]
	v_add_f64 v[25:26], v[40:41], v[44:45]
	v_add_f64 v[35:36], v[190:191], v[40:41]
	v_add_f64 v[40:41], v[40:41], -v[44:45]
	v_fma_f64 v[156:157], v[164:165], s[0:1], v[1:2]
	v_fma_f64 v[164:165], v[164:165], s[10:11], v[1:2]
	v_add_f64 v[1:2], v[38:39], v[42:43]
	v_fma_f64 v[25:26], v[25:26], -0.5, v[190:191]
	v_add_f64 v[190:191], v[35:36], v[44:45]
	v_add_f64 v[35:36], v[38:39], -v[42:43]
	s_delay_alu instid0(VALU_DEP_4) | instskip(SKIP_2) | instid1(VALU_DEP_4)
	v_fma_f64 v[1:2], v[1:2], -0.5, v[188:189]
	v_add_f64 v[188:189], v[188:189], v[38:39]
	v_add_f64 v[38:39], v[184:185], v[46:47]
	v_fma_f64 v[194:195], v[35:36], s[10:11], v[25:26]
	v_fma_f64 v[198:199], v[35:36], s[0:1], v[25:26]
	v_add_f64 v[25:26], v[50:51], v[202:203]
	v_add_f64 v[35:36], v[186:187], v[50:51]
	v_fma_f64 v[192:193], v[40:41], s[0:1], v[1:2]
	v_fma_f64 v[196:197], v[40:41], s[10:11], v[1:2]
	v_add_f64 v[1:2], v[46:47], v[200:201]
	v_add_f64 v[40:41], v[50:51], -v[202:203]
	v_add_f64 v[188:189], v[188:189], v[42:43]
	v_fma_f64 v[25:26], v[25:26], -0.5, v[186:187]
	v_add_f64 v[186:187], v[35:36], v[202:203]
	v_add_f64 v[35:36], v[46:47], -v[200:201]
	v_fma_f64 v[1:2], v[1:2], -0.5, v[184:185]
	v_add_f64 v[184:185], v[38:39], v[200:201]
	v_add_f64 v[38:39], v[180:181], v[208:209]
	s_delay_alu instid0(VALU_DEP_4)
	v_fma_f64 v[202:203], v[35:36], s[10:11], v[25:26]
	v_fma_f64 v[206:207], v[35:36], s[0:1], v[25:26]
	v_add_f64 v[25:26], v[210:211], v[214:215]
	v_add_f64 v[35:36], v[182:183], v[210:211]
	v_fma_f64 v[200:201], v[40:41], s[0:1], v[1:2]
	v_fma_f64 v[204:205], v[40:41], s[10:11], v[1:2]
	v_add_f64 v[1:2], v[208:209], v[212:213]
	v_add_f64 v[40:41], v[210:211], -v[214:215]
	v_fma_f64 v[25:26], v[25:26], -0.5, v[182:183]
	v_add_f64 v[182:183], v[35:36], v[214:215]
	v_add_f64 v[35:36], v[208:209], -v[212:213]
	v_fma_f64 v[1:2], v[1:2], -0.5, v[180:181]
	v_add_f64 v[180:181], v[38:39], v[212:213]
	v_add_f64 v[38:39], v[176:177], v[220:221]
	s_delay_alu instid0(VALU_DEP_4)
	v_fma_f64 v[210:211], v[35:36], s[10:11], v[25:26]
	v_fma_f64 v[214:215], v[35:36], s[0:1], v[25:26]
	v_add_f64 v[25:26], v[216:217], v[218:219]
	v_add_f64 v[35:36], v[178:179], v[216:217]
	v_fma_f64 v[208:209], v[40:41], s[0:1], v[1:2]
	v_fma_f64 v[212:213], v[40:41], s[10:11], v[1:2]
	v_add_f64 v[1:2], v[220:221], v[222:223]
	v_add_f64 v[40:41], v[216:217], -v[218:219]
	v_add_f64 v[216:217], v[38:39], v[222:223]
	v_fma_f64 v[25:26], v[25:26], -0.5, v[178:179]
	v_add_f64 v[218:219], v[35:36], v[218:219]
	v_add_f64 v[35:36], v[220:221], -v[222:223]
	v_fma_f64 v[1:2], v[1:2], -0.5, v[176:177]
	s_delay_alu instid0(VALU_DEP_2) | instskip(SKIP_1) | instid1(VALU_DEP_3)
	v_fma_f64 v[246:247], v[35:36], s[0:1], v[25:26]
	v_fma_f64 v[242:243], v[35:36], s[10:11], v[25:26]
	;; [unrolled: 1-line block ×3, first 2 shown]
	v_cmp_lt_u16_e64 s0, 20, v32
	v_fma_f64 v[244:245], v[40:41], s[10:11], v[1:2]
	s_delay_alu instid0(VALU_DEP_2) | instskip(SKIP_1) | instid1(VALU_DEP_2)
	v_cndmask_b32_e64 v1, 0, 0x90, s0
	v_add_co_u32 v0, s0, s2, v0
	v_add_nc_u32_e32 v1, v37, v1
	s_delay_alu instid0(VALU_DEP_1)
	v_lshl_add_u32 v1, v1, 4, v49
	ds_store_b128 v1, v[188:191]
	ds_store_b128 v1, v[192:195] offset:768
	scratch_store_b32 off, v1, off offset:304 ; 4-byte Folded Spill
	ds_store_b128 v1, v[196:199] offset:1536
	ds_store_b128 v34, v[21:24] offset:2400
	v_lshl_add_u32 v1, v3, 4, v49
	scratch_store_b32 off, v1, off offset:300 ; 4-byte Folded Spill
	ds_store_b128 v1, v[156:159] offset:3072
	ds_store_b128 v34, v[164:167] offset:3936
	v_and_b32_e32 v1, 0xffff, v27
	s_delay_alu instid0(VALU_DEP_1) | instskip(NEXT) | instid1(VALU_DEP_1)
	v_mul_u32_u24_e32 v1, 0x90, v1
	v_add_nc_u32_e32 v1, v1, v30
	s_delay_alu instid0(VALU_DEP_1)
	v_lshl_add_u32 v1, v1, 4, v49
	ds_store_b128 v1, v[184:187]
	ds_store_b128 v1, v[200:203] offset:768
	scratch_store_b32 off, v1, off offset:296 ; 4-byte Folded Spill
	ds_store_b128 v1, v[204:207] offset:1536
	v_lshl_add_u32 v1, v48, 4, v49
	ds_store_b128 v1, v[180:183] offset:4608
	ds_store_b128 v1, v[208:211] offset:5376
	scratch_store_b32 off, v1, off offset:292 ; 4-byte Folded Spill
	ds_store_b128 v1, v[212:215] offset:6144
	v_add_co_ci_u32_e64 v1, null, s3, 0, s0
	s_and_saveexec_b32 s0, vcc_lo
	s_cbranch_execz .LBB0_11
; %bb.10:
	scratch_load_b32 v2, off, off offset:284 ; 4-byte Folded Reload
	s_waitcnt vmcnt(0)
	v_lshl_add_u32 v2, v2, 4, v49
	ds_store_b128 v2, v[216:219] offset:4608
	ds_store_b128 v2, v[240:243] offset:5376
	;; [unrolled: 1-line block ×3, first 2 shown]
.LBB0_11:
	s_or_b32 exec_lo, exec_lo, s0
	s_waitcnt lgkmcnt(0)
	s_waitcnt_vscnt null, 0x0
	s_barrier
	buffer_gl0_inv
	ds_load_b128 v[236:239], v34
	ds_load_b128 v[232:235], v34 offset:432
	ds_load_b128 v[184:187], v34 offset:4608
	ds_load_b128 v[192:195], v34 offset:5040
	ds_load_b128 v[196:199], v34 offset:2736
	ds_load_b128 v[200:203], v34 offset:3168
	ds_load_b128 v[228:231], v34 offset:864
	ds_load_b128 v[224:227], v34 offset:1296
	ds_load_b128 v[204:207], v34 offset:5472
	ds_load_b128 v[208:211], v34 offset:5904
	ds_load_b128 v[188:191], v34 offset:2304
	ds_load_b128 v[220:223], v34 offset:1728
	ds_load_b128 v[212:215], v34 offset:3600
	ds_load_b128 v[164:167], v34 offset:4032
	ds_load_b128 v[156:159], v34 offset:6336
	s_and_saveexec_b32 s0, vcc_lo
	s_cbranch_execz .LBB0_13
; %bb.12:
	ds_load_b128 v[216:219], v34 offset:2160
	ds_load_b128 v[240:243], v34 offset:4464
	;; [unrolled: 1-line block ×3, first 2 shown]
.LBB0_13:
	s_or_b32 exec_lo, exec_lo, s0
	s_clause 0x1
	global_load_b128 v[176:179], v[0:1], off offset:2256
	global_load_b128 v[180:183], v[0:1], off offset:2272
	v_lshlrev_b32_e32 v12, 5, v31
	v_lshlrev_b32_e32 v16, 5, v16
	;; [unrolled: 1-line block ×4, first 2 shown]
	s_waitcnt vmcnt(1) lgkmcnt(4)
	v_mul_f64 v[0:1], v[190:191], v[178:179]
	s_waitcnt vmcnt(0)
	v_mul_f64 v[2:3], v[186:187], v[182:183]
	s_delay_alu instid0(VALU_DEP_2) | instskip(SKIP_1) | instid1(VALU_DEP_3)
	v_fma_f64 v[8:9], v[188:189], v[176:177], -v[0:1]
	v_mul_f64 v[0:1], v[188:189], v[178:179]
	v_fma_f64 v[10:11], v[184:185], v[180:181], -v[2:3]
	v_mul_f64 v[2:3], v[184:185], v[182:183]
	s_delay_alu instid0(VALU_DEP_3) | instskip(NEXT) | instid1(VALU_DEP_2)
	v_fma_f64 v[0:1], v[190:191], v[176:177], v[0:1]
	v_fma_f64 v[2:3], v[186:187], v[180:181], v[2:3]
	s_clause 0x1
	global_load_b128 v[184:187], v12, s[2:3] offset:2256
	global_load_b128 v[188:191], v12, s[2:3] offset:2272
	s_waitcnt vmcnt(1)
	v_mul_f64 v[12:13], v[198:199], v[186:187]
	s_waitcnt vmcnt(0)
	v_mul_f64 v[14:15], v[194:195], v[190:191]
	s_delay_alu instid0(VALU_DEP_2) | instskip(SKIP_1) | instid1(VALU_DEP_3)
	v_fma_f64 v[17:18], v[196:197], v[184:185], -v[12:13]
	v_mul_f64 v[12:13], v[196:197], v[186:187]
	v_fma_f64 v[19:20], v[192:193], v[188:189], -v[14:15]
	v_mul_f64 v[14:15], v[192:193], v[190:191]
	s_delay_alu instid0(VALU_DEP_3) | instskip(NEXT) | instid1(VALU_DEP_2)
	v_fma_f64 v[12:13], v[198:199], v[184:185], v[12:13]
	v_fma_f64 v[14:15], v[194:195], v[188:189], v[14:15]
	s_clause 0x1
	global_load_b128 v[192:195], v16, s[2:3] offset:2256
	global_load_b128 v[196:199], v16, s[2:3] offset:2272
	s_waitcnt vmcnt(1)
	v_mul_f64 v[21:22], v[202:203], v[194:195]
	s_delay_alu instid0(VALU_DEP_1) | instskip(SKIP_1) | instid1(VALU_DEP_1)
	v_fma_f64 v[35:36], v[200:201], v[192:193], -v[21:22]
	v_mul_f64 v[21:22], v[200:201], v[194:195]
	v_fma_f64 v[24:25], v[202:203], v[192:193], v[21:22]
	s_waitcnt vmcnt(0)
	v_mul_f64 v[21:22], v[206:207], v[198:199]
	s_delay_alu instid0(VALU_DEP_1) | instskip(SKIP_1) | instid1(VALU_DEP_1)
	v_fma_f64 v[37:38], v[204:205], v[196:197], -v[21:22]
	v_mul_f64 v[21:22], v[204:205], v[198:199]
	v_fma_f64 v[26:27], v[206:207], v[196:197], v[21:22]
	s_clause 0x1
	global_load_b128 v[200:203], v7, s[2:3] offset:2256
	global_load_b128 v[204:207], v7, s[2:3] offset:2272
	s_waitcnt vmcnt(1) lgkmcnt(2)
	v_mul_f64 v[21:22], v[214:215], v[202:203]
	s_delay_alu instid0(VALU_DEP_1) | instskip(SKIP_1) | instid1(VALU_DEP_1)
	v_fma_f64 v[39:40], v[212:213], v[200:201], -v[21:22]
	v_mul_f64 v[21:22], v[212:213], v[202:203]
	v_fma_f64 v[41:42], v[214:215], v[200:201], v[21:22]
	s_waitcnt vmcnt(0)
	v_mul_f64 v[21:22], v[210:211], v[206:207]
	s_delay_alu instid0(VALU_DEP_1) | instskip(SKIP_1) | instid1(VALU_DEP_1)
	v_fma_f64 v[43:44], v[208:209], v[204:205], -v[21:22]
	v_mul_f64 v[21:22], v[208:209], v[206:207]
	v_fma_f64 v[45:46], v[210:211], v[204:205], v[21:22]
	s_clause 0x1
	global_load_b128 v[208:211], v6, s[2:3] offset:2256
	global_load_b128 v[212:215], v6, s[2:3] offset:2272
	s_waitcnt vmcnt(1) lgkmcnt(1)
	v_mul_f64 v[6:7], v[166:167], v[210:211]
	s_delay_alu instid0(VALU_DEP_1) | instskip(SKIP_1) | instid1(VALU_DEP_1)
	v_fma_f64 v[47:48], v[164:165], v[208:209], -v[6:7]
	v_mul_f64 v[6:7], v[164:165], v[210:211]
	v_fma_f64 v[50:51], v[166:167], v[208:209], v[6:7]
	s_waitcnt vmcnt(0) lgkmcnt(0)
	v_mul_f64 v[6:7], v[158:159], v[214:215]
	s_delay_alu instid0(VALU_DEP_1) | instskip(SKIP_1) | instid1(VALU_DEP_1)
	v_fma_f64 v[252:253], v[156:157], v[212:213], -v[6:7]
	v_mul_f64 v[6:7], v[156:157], v[214:215]
	v_fma_f64 v[248:249], v[158:159], v[212:213], v[6:7]
	v_add_co_u32 v6, s0, v32, -9
	s_delay_alu instid0(VALU_DEP_1) | instskip(NEXT) | instid1(VALU_DEP_1)
	v_add_co_ci_u32_e64 v7, null, 0, -1, s0
	v_dual_cndmask_b32 v4, v6, v4 :: v_dual_cndmask_b32 v5, v7, v5
	s_delay_alu instid0(VALU_DEP_1) | instskip(NEXT) | instid1(VALU_DEP_1)
	v_lshlrev_b64 v[4:5], 5, v[4:5]
	v_add_co_u32 v4, s0, s2, v4
	s_delay_alu instid0(VALU_DEP_1)
	v_add_co_ci_u32_e64 v5, s0, s3, v5, s0
	s_clause 0x1
	global_load_b128 v[52:55], v[4:5], off offset:2256
	global_load_b128 v[56:59], v[4:5], off offset:2272
	s_mov_b32 s0, 0xe8584caa
	s_mov_b32 s1, 0x3febb67a
	;; [unrolled: 1-line block ×4, first 2 shown]
	s_waitcnt vmcnt(1)
	v_mul_f64 v[4:5], v[242:243], v[54:55]
	scratch_store_b128 off, v[52:55], off offset:316 ; 16-byte Folded Spill
	s_waitcnt vmcnt(0)
	scratch_store_b128 off, v[56:59], off offset:332 ; 16-byte Folded Spill
	v_fma_f64 v[30:31], v[240:241], v[52:53], -v[4:5]
	v_mul_f64 v[4:5], v[240:241], v[54:55]
	s_delay_alu instid0(VALU_DEP_1) | instskip(SKIP_1) | instid1(VALU_DEP_1)
	v_fma_f64 v[52:53], v[242:243], v[52:53], v[4:5]
	v_mul_f64 v[4:5], v[246:247], v[58:59]
	v_fma_f64 v[54:55], v[244:245], v[56:57], -v[4:5]
	v_mul_f64 v[4:5], v[244:245], v[58:59]
	v_add_f64 v[58:59], v[236:237], v[8:9]
	s_delay_alu instid0(VALU_DEP_2) | instskip(SKIP_1) | instid1(VALU_DEP_1)
	v_fma_f64 v[56:57], v[246:247], v[56:57], v[4:5]
	v_add_f64 v[4:5], v[8:9], v[10:11]
	v_fma_f64 v[6:7], v[4:5], -0.5, v[236:237]
	v_add_f64 v[4:5], v[0:1], v[2:3]
	v_add_f64 v[236:237], v[0:1], -v[2:3]
	s_delay_alu instid0(VALU_DEP_2)
	v_fma_f64 v[21:22], v[4:5], -0.5, v[238:239]
	v_add_f64 v[4:5], v[238:239], v[0:1]
	v_add_f64 v[0:1], v[58:59], v[10:11]
	v_add_f64 v[10:11], v[8:9], -v[10:11]
	v_fma_f64 v[8:9], v[236:237], s[2:3], v[6:7]
	v_add_f64 v[58:59], v[12:13], v[14:15]
	v_add_f64 v[2:3], v[4:5], v[2:3]
	v_fma_f64 v[4:5], v[236:237], s[0:1], v[6:7]
	v_fma_f64 v[6:7], v[10:11], s[2:3], v[21:22]
	;; [unrolled: 1-line block ×3, first 2 shown]
	v_add_f64 v[21:22], v[17:18], v[19:20]
	v_fma_f64 v[58:59], v[58:59], -0.5, v[234:235]
	v_add_f64 v[234:235], v[234:235], v[12:13]
	v_add_f64 v[236:237], v[12:13], -v[14:15]
	s_delay_alu instid0(VALU_DEP_4) | instskip(SKIP_1) | instid1(VALU_DEP_4)
	v_fma_f64 v[21:22], v[21:22], -0.5, v[232:233]
	v_add_f64 v[232:233], v[232:233], v[17:18]
	v_add_f64 v[14:15], v[234:235], v[14:15]
	s_delay_alu instid0(VALU_DEP_2) | instskip(SKIP_3) | instid1(VALU_DEP_3)
	v_add_f64 v[12:13], v[232:233], v[19:20]
	v_add_f64 v[232:233], v[17:18], -v[19:20]
	v_fma_f64 v[16:17], v[236:237], s[0:1], v[21:22]
	v_fma_f64 v[20:21], v[236:237], s[2:3], v[21:22]
	;; [unrolled: 1-line block ×4, first 2 shown]
	v_add_f64 v[58:59], v[35:36], v[37:38]
	v_add_f64 v[232:233], v[24:25], v[26:27]
	s_delay_alu instid0(VALU_DEP_2) | instskip(NEXT) | instid1(VALU_DEP_2)
	v_fma_f64 v[58:59], v[58:59], -0.5, v[228:229]
	v_fma_f64 v[234:235], v[232:233], -0.5, v[230:231]
	v_add_f64 v[230:231], v[230:231], v[24:25]
	v_add_f64 v[228:229], v[228:229], v[35:36]
	v_add_f64 v[35:36], v[35:36], -v[37:38]
	v_add_f64 v[232:233], v[24:25], -v[26:27]
	s_delay_alu instid0(VALU_DEP_4) | instskip(NEXT) | instid1(VALU_DEP_4)
	v_add_f64 v[26:27], v[230:231], v[26:27]
	v_add_f64 v[24:25], v[228:229], v[37:38]
	s_delay_alu instid0(VALU_DEP_4)
	v_fma_f64 v[230:231], v[35:36], s[2:3], v[234:235]
	v_fma_f64 v[234:235], v[35:36], s[0:1], v[234:235]
	v_add_f64 v[35:36], v[39:40], v[43:44]
	v_add_f64 v[37:38], v[41:42], v[45:46]
	v_fma_f64 v[228:229], v[232:233], s[0:1], v[58:59]
	v_fma_f64 v[232:233], v[232:233], s[2:3], v[58:59]
	v_add_f64 v[58:59], v[226:227], v[41:42]
	v_add_f64 v[41:42], v[41:42], -v[45:46]
	v_fma_f64 v[35:36], v[35:36], -0.5, v[224:225]
	v_fma_f64 v[37:38], v[37:38], -0.5, v[226:227]
	v_add_f64 v[224:225], v[224:225], v[39:40]
	v_add_f64 v[39:40], v[39:40], -v[43:44]
	v_add_f64 v[238:239], v[58:59], v[45:46]
	v_add_f64 v[45:46], v[216:217], v[30:31]
	v_fma_f64 v[240:241], v[41:42], s[0:1], v[35:36]
	v_fma_f64 v[244:245], v[41:42], s[2:3], v[35:36]
	v_add_f64 v[35:36], v[47:48], v[252:253]
	v_fma_f64 v[242:243], v[39:40], s[2:3], v[37:38]
	v_fma_f64 v[246:247], v[39:40], s[0:1], v[37:38]
	v_add_f64 v[37:38], v[50:51], v[248:249]
	v_add_f64 v[39:40], v[222:223], v[50:51]
	;; [unrolled: 1-line block ×4, first 2 shown]
	v_add_f64 v[43:44], v[50:51], -v[248:249]
	v_fma_f64 v[35:36], v[35:36], -0.5, v[220:221]
	v_fma_f64 v[37:38], v[37:38], -0.5, v[222:223]
	v_add_f64 v[250:251], v[39:40], v[248:249]
	v_add_f64 v[39:40], v[47:48], -v[252:253]
	v_add_f64 v[248:249], v[41:42], v[252:253]
	v_add_f64 v[41:42], v[52:53], v[56:57]
	v_add_f64 v[47:48], v[52:53], -v[56:57]
	ds_store_b128 v34, v[0:3]
	ds_store_b128 v34, v[12:15] offset:432
	ds_store_b128 v34, v[16:19] offset:2736
	;; [unrolled: 1-line block ×11, first 2 shown]
	v_lshl_add_u32 v0, v28, 4, v29
	v_fma_f64 v[252:253], v[43:44], s[0:1], v[35:36]
	v_fma_f64 v[35:36], v[43:44], s[2:3], v[35:36]
	v_add_f64 v[43:44], v[218:219], v[52:53]
	v_fma_f64 v[254:255], v[39:40], s[2:3], v[37:38]
	v_fma_f64 v[37:38], v[39:40], s[0:1], v[37:38]
	v_add_f64 v[39:40], v[30:31], v[54:55]
	v_fma_f64 v[41:42], v[41:42], -0.5, v[218:219]
	v_add_f64 v[30:31], v[30:31], -v[54:55]
	ds_store_b128 v34, v[244:247] offset:5904
	ds_store_b128 v0, v[252:255] offset:4032
	v_add_f64 v[218:219], v[43:44], v[56:57]
	scratch_store_b32 off, v0, off offset:308 ; 4-byte Folded Spill
	v_fma_f64 v[39:40], v[39:40], -0.5, v[216:217]
	v_add_f64 v[216:217], v[45:46], v[54:55]
	v_fma_f64 v[222:223], v[30:31], s[2:3], v[41:42]
	v_fma_f64 v[226:227], v[30:31], s[0:1], v[41:42]
	ds_store_b128 v0, v[35:38] offset:6336
	v_fma_f64 v[220:221], v[47:48], s[0:1], v[39:40]
	v_fma_f64 v[224:225], v[47:48], s[2:3], v[39:40]
	s_and_saveexec_b32 s0, vcc_lo
	s_cbranch_execz .LBB0_15
; %bb.14:
	ds_store_b128 v34, v[216:219] offset:2160
	ds_store_b128 v34, v[220:223] offset:4464
	;; [unrolled: 1-line block ×3, first 2 shown]
.LBB0_15:
	s_or_b32 exec_lo, exec_lo, s0
	s_waitcnt lgkmcnt(0)
	s_waitcnt_vscnt null, 0x0
	s_barrier
	buffer_gl0_inv
	scratch_load_b32 v0, off, off offset:288 ; 4-byte Folded Reload
	s_add_u32 s2, s16, 0x1b00
	s_addc_u32 s3, s17, 0
	v_lshlrev_b32_e32 v4, 4, v32
	s_waitcnt vmcnt(0)
	s_clause 0x2
	global_load_b128 v[0:3], v0, s[2:3]
	global_load_b128 v[5:8], v4, s[2:3]
	global_load_b128 v[9:12], v4, s[2:3] offset:2304
	ds_load_b128 v[13:16], v34 offset:4608
	ds_load_b128 v[17:20], v34 offset:5040
	ds_load_b128 v[21:24], v34
	ds_load_b128 v[25:28], v34 offset:432
	s_waitcnt vmcnt(1) lgkmcnt(1)
	v_mul_f64 v[39:40], v[23:24], v[7:8]
	v_mul_f64 v[29:30], v[15:16], v[2:3]
	;; [unrolled: 1-line block ×4, first 2 shown]
	s_delay_alu instid0(VALU_DEP_4) | instskip(NEXT) | instid1(VALU_DEP_4)
	v_fma_f64 v[21:22], v[21:22], v[5:6], -v[39:40]
	v_fma_f64 v[13:14], v[13:14], v[0:1], -v[29:30]
	s_delay_alu instid0(VALU_DEP_4)
	v_fma_f64 v[15:16], v[15:16], v[0:1], v[2:3]
	ds_load_b128 v[0:3], v34 offset:2304
	ds_load_b128 v[35:38], v34 offset:1728
	v_fma_f64 v[23:24], v[23:24], v[5:6], v[7:8]
	global_load_b128 v[5:8], v4, s[2:3] offset:2736
	s_waitcnt vmcnt(1) lgkmcnt(1)
	v_mul_f64 v[29:30], v[2:3], v[11:12]
	v_mul_f64 v[11:12], v[0:1], v[11:12]
	s_delay_alu instid0(VALU_DEP_2) | instskip(NEXT) | instid1(VALU_DEP_2)
	v_fma_f64 v[228:229], v[0:1], v[9:10], -v[29:30]
	v_fma_f64 v[230:231], v[2:3], v[9:10], v[11:12]
	s_clause 0x1
	global_load_b128 v[0:3], v4, s[2:3] offset:432
	global_load_b128 v[9:12], v4, s[2:3] offset:864
	s_waitcnt vmcnt(1)
	v_mul_f64 v[29:30], v[27:28], v[2:3]
	v_mul_f64 v[2:3], v[25:26], v[2:3]
	s_delay_alu instid0(VALU_DEP_2) | instskip(NEXT) | instid1(VALU_DEP_2)
	v_fma_f64 v[25:26], v[25:26], v[0:1], -v[29:30]
	v_fma_f64 v[27:28], v[27:28], v[0:1], v[2:3]
	ds_load_b128 v[0:3], v34 offset:2736
	ds_load_b128 v[232:235], v34 offset:3168
	s_waitcnt lgkmcnt(1)
	v_mul_f64 v[29:30], v[2:3], v[7:8]
	v_mul_f64 v[7:8], v[0:1], v[7:8]
	s_delay_alu instid0(VALU_DEP_2) | instskip(NEXT) | instid1(VALU_DEP_2)
	v_fma_f64 v[236:237], v[0:1], v[5:6], -v[29:30]
	v_fma_f64 v[238:239], v[2:3], v[5:6], v[7:8]
	ds_load_b128 v[0:3], v34 offset:864
	ds_load_b128 v[5:8], v34 offset:1296
	s_waitcnt vmcnt(0) lgkmcnt(1)
	v_mul_f64 v[29:30], v[2:3], v[11:12]
	v_mul_f64 v[11:12], v[0:1], v[11:12]
	s_delay_alu instid0(VALU_DEP_2) | instskip(NEXT) | instid1(VALU_DEP_2)
	v_fma_f64 v[240:241], v[0:1], v[9:10], -v[29:30]
	v_fma_f64 v[242:243], v[2:3], v[9:10], v[11:12]
	s_clause 0x1
	global_load_b128 v[0:3], v4, s[2:3] offset:3168
	global_load_b128 v[9:12], v4, s[2:3] offset:3600
	s_waitcnt vmcnt(1)
	v_mul_f64 v[29:30], v[234:235], v[2:3]
	v_mul_f64 v[2:3], v[232:233], v[2:3]
	s_delay_alu instid0(VALU_DEP_2) | instskip(NEXT) | instid1(VALU_DEP_2)
	v_fma_f64 v[232:233], v[232:233], v[0:1], -v[29:30]
	v_fma_f64 v[234:235], v[234:235], v[0:1], v[2:3]
	s_clause 0x1
	global_load_b128 v[0:3], v4, s[2:3] offset:1296
	global_load_b128 v[244:247], v4, s[2:3] offset:1728
	s_waitcnt vmcnt(1) lgkmcnt(0)
	v_mul_f64 v[29:30], v[7:8], v[2:3]
	v_mul_f64 v[2:3], v[5:6], v[2:3]
	s_delay_alu instid0(VALU_DEP_2) | instskip(NEXT) | instid1(VALU_DEP_2)
	v_fma_f64 v[5:6], v[5:6], v[0:1], -v[29:30]
	v_fma_f64 v[7:8], v[7:8], v[0:1], v[2:3]
	ds_load_b128 v[0:3], v34 offset:3600
	ds_load_b128 v[248:251], v34 offset:4032
	s_waitcnt lgkmcnt(1)
	v_mul_f64 v[29:30], v[2:3], v[11:12]
	v_mul_f64 v[11:12], v[0:1], v[11:12]
	s_delay_alu instid0(VALU_DEP_2) | instskip(NEXT) | instid1(VALU_DEP_2)
	v_fma_f64 v[252:253], v[0:1], v[9:10], -v[29:30]
	v_fma_f64 v[254:255], v[2:3], v[9:10], v[11:12]
	s_waitcnt vmcnt(0)
	v_mul_f64 v[2:3], v[35:36], v[246:247]
	v_mul_f64 v[0:1], v[37:38], v[246:247]
	s_delay_alu instid0(VALU_DEP_2) | instskip(SKIP_1) | instid1(VALU_DEP_1)
	v_fma_f64 v[11:12], v[37:38], v[244:245], v[2:3]
	v_add_co_u32 v2, s0, s2, v4
	v_add_co_ci_u32_e64 v3, null, s3, 0, s0
	s_delay_alu instid0(VALU_DEP_4) | instskip(NEXT) | instid1(VALU_DEP_3)
	v_fma_f64 v[9:10], v[35:36], v[244:245], -v[0:1]
	v_add_co_u32 v0, s0, 0x1000, v2
	s_delay_alu instid0(VALU_DEP_1)
	v_add_co_ci_u32_e64 v1, s0, 0, v3, s0
	s_clause 0x1
	global_load_b128 v[35:38], v4, s[2:3] offset:4032
	global_load_b128 v[244:247], v[0:1], off offset:944
	s_waitcnt vmcnt(1) lgkmcnt(0)
	v_mul_f64 v[29:30], v[250:251], v[37:38]
	v_mul_f64 v[37:38], v[248:249], v[37:38]
	s_delay_alu instid0(VALU_DEP_2) | instskip(NEXT) | instid1(VALU_DEP_2)
	v_fma_f64 v[248:249], v[248:249], v[35:36], -v[29:30]
	v_fma_f64 v[250:251], v[250:251], v[35:36], v[37:38]
	s_waitcnt vmcnt(0)
	v_mul_f64 v[29:30], v[19:20], v[246:247]
	v_mul_f64 v[35:36], v[17:18], v[246:247]
	s_delay_alu instid0(VALU_DEP_2) | instskip(NEXT) | instid1(VALU_DEP_2)
	v_fma_f64 v[17:18], v[17:18], v[244:245], -v[29:30]
	v_fma_f64 v[19:20], v[19:20], v[244:245], v[35:36]
	s_clause 0x1
	global_load_b128 v[35:38], v[0:1], off offset:1376
	global_load_b128 v[244:247], v[0:1], off offset:1808
	ds_load_b128 v[39:42], v34 offset:5472
	ds_load_b128 v[43:46], v34 offset:5904
	s_waitcnt vmcnt(1) lgkmcnt(1)
	v_mul_f64 v[29:30], v[41:42], v[37:38]
	v_mul_f64 v[47:48], v[39:40], v[37:38]
	s_delay_alu instid0(VALU_DEP_2) | instskip(NEXT) | instid1(VALU_DEP_2)
	v_fma_f64 v[37:38], v[39:40], v[35:36], -v[29:30]
	v_fma_f64 v[39:40], v[41:42], v[35:36], v[47:48]
	s_waitcnt vmcnt(0) lgkmcnt(0)
	v_mul_f64 v[29:30], v[45:46], v[246:247]
	v_mul_f64 v[35:36], v[43:44], v[246:247]
	s_delay_alu instid0(VALU_DEP_2) | instskip(NEXT) | instid1(VALU_DEP_2)
	v_fma_f64 v[41:42], v[43:44], v[244:245], -v[29:30]
	v_fma_f64 v[43:44], v[45:46], v[244:245], v[35:36]
	global_load_b128 v[244:247], v[0:1], off offset:2240
	ds_load_b128 v[45:48], v34 offset:6336
	s_waitcnt vmcnt(0) lgkmcnt(0)
	v_mul_f64 v[29:30], v[47:48], v[246:247]
	v_mul_f64 v[35:36], v[45:46], v[246:247]
	s_delay_alu instid0(VALU_DEP_2) | instskip(NEXT) | instid1(VALU_DEP_2)
	v_fma_f64 v[45:46], v[45:46], v[244:245], -v[29:30]
	v_fma_f64 v[47:48], v[47:48], v[244:245], v[35:36]
	ds_store_b128 v34, v[21:24]
	ds_store_b128 v34, v[25:28] offset:432
	ds_store_b128 v34, v[236:239] offset:2736
	;; [unrolled: 1-line block ×14, first 2 shown]
	s_and_saveexec_b32 s0, vcc_lo
	s_cbranch_execz .LBB0_17
; %bb.16:
	s_clause 0x2
	global_load_b128 v[2:5], v[2:3], off offset:2160
	global_load_b128 v[6:9], v[0:1], off offset:368
	;; [unrolled: 1-line block ×3, first 2 shown]
	ds_load_b128 v[14:17], v34 offset:2160
	ds_load_b128 v[18:21], v34 offset:4464
	;; [unrolled: 1-line block ×3, first 2 shown]
	s_waitcnt vmcnt(2) lgkmcnt(2)
	v_mul_f64 v[0:1], v[16:17], v[4:5]
	v_mul_f64 v[4:5], v[14:15], v[4:5]
	s_waitcnt vmcnt(1) lgkmcnt(1)
	v_mul_f64 v[26:27], v[20:21], v[8:9]
	v_mul_f64 v[8:9], v[18:19], v[8:9]
	;; [unrolled: 3-line block ×3, first 2 shown]
	v_fma_f64 v[0:1], v[14:15], v[2:3], -v[0:1]
	v_fma_f64 v[2:3], v[16:17], v[2:3], v[4:5]
	v_fma_f64 v[4:5], v[18:19], v[6:7], -v[26:27]
	v_fma_f64 v[6:7], v[20:21], v[6:7], v[8:9]
	;; [unrolled: 2-line block ×3, first 2 shown]
	ds_store_b128 v34, v[0:3] offset:2160
	ds_store_b128 v34, v[4:7] offset:4464
	;; [unrolled: 1-line block ×3, first 2 shown]
.LBB0_17:
	s_or_b32 exec_lo, exec_lo, s0
	s_waitcnt lgkmcnt(0)
	s_barrier
	buffer_gl0_inv
	ds_load_b128 v[244:247], v34
	ds_load_b128 v[240:243], v34 offset:432
	ds_load_b128 v[24:27], v34 offset:4608
	;; [unrolled: 1-line block ×14, first 2 shown]
	s_and_saveexec_b32 s0, vcc_lo
	s_cbranch_execz .LBB0_19
; %bb.18:
	ds_load_b128 v[216:219], v34 offset:2160
	ds_load_b128 v[220:223], v34 offset:4464
	;; [unrolled: 1-line block ×3, first 2 shown]
.LBB0_19:
	s_or_b32 exec_lo, exec_lo, s0
	s_waitcnt lgkmcnt(4)
	v_add_f64 v[37:38], v[246:247], v[30:31]
	v_add_f64 v[35:36], v[244:245], v[28:29]
	;; [unrolled: 1-line block ×3, first 2 shown]
	v_add_f64 v[30:31], v[30:31], -v[26:27]
	v_add_f64 v[45:46], v[22:23], v[18:19]
	v_add_f64 v[47:48], v[22:23], -v[18:19]
	v_add_f64 v[39:40], v[28:29], v[24:25]
	;; [unrolled: 2-line block ×3, first 2 shown]
	v_add_f64 v[50:51], v[20:21], -v[16:17]
	v_add_f64 v[52:53], v[6:7], -v[14:15]
	;; [unrolled: 1-line block ×3, first 2 shown]
	s_waitcnt lgkmcnt(2)
	v_add_f64 v[58:59], v[10:11], v[2:3]
	v_add_f64 v[156:157], v[10:11], -v[2:3]
	s_mov_b32 s0, 0xe8584caa
	s_mov_b32 s1, 0xbfebb67a
	;; [unrolled: 1-line block ×4, first 2 shown]
	v_add_f64 v[56:57], v[8:9], v[0:1]
	v_add_f64 v[158:159], v[8:9], -v[0:1]
	s_waitcnt lgkmcnt(0)
	s_barrier
	buffer_gl0_inv
	v_add_f64 v[164:165], v[252:253], v[248:249]
	v_add_f64 v[166:167], v[254:255], v[250:251]
	;; [unrolled: 1-line block ×16, first 2 shown]
	v_fma_f64 v[22:23], v[41:42], -0.5, v[246:247]
	v_add_f64 v[8:9], v[232:233], v[252:253]
	v_add_f64 v[10:11], v[234:235], v[254:255]
	v_add_f64 v[254:255], v[254:255], -v[250:251]
	v_add_f64 v[252:253], v[252:253], -v[248:249]
	v_add_f64 v[2:3], v[14:15], v[2:3]
	v_fma_f64 v[14:15], v[39:40], -0.5, v[244:245]
	v_add_f64 v[0:1], v[12:13], v[0:1]
	v_add_f64 v[8:9], v[8:9], v[248:249]
	v_add_f64 v[10:11], v[10:11], v[250:251]
	s_delay_alu instid0(VALU_DEP_4)
	v_fma_f64 v[12:13], v[30:31], s[0:1], v[14:15]
	v_fma_f64 v[20:21], v[30:31], s[2:3], v[14:15]
	;; [unrolled: 1-line block ×4, first 2 shown]
	scratch_load_b32 v28, off, off offset:280 ; 4-byte Folded Reload
	s_waitcnt vmcnt(0)
	ds_store_b128 v28, v[24:27]
	ds_store_b128 v28, v[12:15] offset:16
	ds_store_b128 v28, v[20:23] offset:32
	scratch_load_b32 v24, off, off offset:276 ; 4-byte Folded Reload
	v_fma_f64 v[14:15], v[43:44], -0.5, v[240:241]
	v_fma_f64 v[22:23], v[45:46], -0.5, v[242:243]
	;; [unrolled: 1-line block ×3, first 2 shown]
	s_delay_alu instid0(VALU_DEP_3) | instskip(SKIP_1) | instid1(VALU_DEP_4)
	v_fma_f64 v[12:13], v[47:48], s[0:1], v[14:15]
	v_fma_f64 v[20:21], v[47:48], s[2:3], v[14:15]
	;; [unrolled: 1-line block ×4, first 2 shown]
	s_waitcnt vmcnt(0)
	ds_store_b128 v24, v[16:19]
	ds_store_b128 v24, v[12:15] offset:16
	ds_store_b128 v24, v[20:23] offset:32
	scratch_load_b32 v28, off, off offset:272 ; 4-byte Folded Reload
	v_fma_f64 v[14:15], v[35:36], -0.5, v[236:237]
	v_fma_f64 v[18:19], v[37:38], -0.5, v[238:239]
	;; [unrolled: 1-line block ×5, first 2 shown]
	v_fma_f64 v[12:13], v[52:53], s[0:1], v[14:15]
	v_fma_f64 v[16:17], v[52:53], s[2:3], v[14:15]
	;; [unrolled: 1-line block ×4, first 2 shown]
	s_waitcnt vmcnt(0)
	ds_store_b128 v28, v[4:7]
	ds_store_b128 v28, v[12:15] offset:16
	ds_store_b128 v28, v[16:19] offset:32
	v_add_f64 v[28:29], v[220:221], v[224:225]
	v_fma_f64 v[4:5], v[156:157], s[0:1], v[20:21]
	v_fma_f64 v[6:7], v[158:159], s[2:3], v[22:23]
	;; [unrolled: 1-line block ×8, first 2 shown]
	v_add_f64 v[24:25], v[222:223], v[226:227]
	v_add_f64 v[26:27], v[222:223], -v[226:227]
	v_fma_f64 v[28:29], v[28:29], -0.5, v[216:217]
	s_delay_alu instid0(VALU_DEP_3) | instskip(NEXT) | instid1(VALU_DEP_2)
	v_fma_f64 v[24:25], v[24:25], -0.5, v[218:219]
	v_fma_f64 v[228:229], v[26:27], s[0:1], v[28:29]
	v_fma_f64 v[232:233], v[26:27], s[2:3], v[28:29]
	v_add_f64 v[26:27], v[220:221], -v[224:225]
	s_delay_alu instid0(VALU_DEP_1)
	v_fma_f64 v[230:231], v[26:27], s[2:3], v[24:25]
	v_fma_f64 v[234:235], v[26:27], s[0:1], v[24:25]
	scratch_load_b32 v24, off, off offset:268 ; 4-byte Folded Reload
	s_waitcnt vmcnt(0)
	ds_store_b128 v24, v[0:3]
	ds_store_b128 v24, v[4:7] offset:16
	ds_store_b128 v24, v[12:15] offset:32
	scratch_load_b32 v0, off, off offset:264 ; 4-byte Folded Reload
	s_waitcnt vmcnt(0)
	ds_store_b128 v0, v[8:11]
	ds_store_b128 v0, v[16:19] offset:16
	ds_store_b128 v0, v[20:23] offset:32
	s_and_saveexec_b32 s0, vcc_lo
	s_cbranch_execz .LBB0_21
; %bb.20:
	v_add_f64 v[0:1], v[218:219], v[222:223]
	v_add_f64 v[4:5], v[216:217], v[220:221]
	s_delay_alu instid0(VALU_DEP_2) | instskip(NEXT) | instid1(VALU_DEP_2)
	v_add_f64 v[2:3], v[0:1], v[226:227]
	v_add_f64 v[0:1], v[4:5], v[224:225]
	scratch_load_b32 v4, off, off offset:312 ; 4-byte Folded Reload
	s_waitcnt vmcnt(0)
	v_lshl_add_u32 v4, v4, 4, v49
	ds_store_b128 v4, v[0:3]
	ds_store_b128 v4, v[228:231] offset:16
	ds_store_b128 v4, v[232:235] offset:32
.LBB0_21:
	s_or_b32 exec_lo, exec_lo, s0
	s_waitcnt lgkmcnt(0)
	s_barrier
	buffer_gl0_inv
	ds_load_b128 v[0:3], v34 offset:432
	ds_load_b128 v[4:7], v34
	s_mov_b32 s0, 0x667f3bcd
	s_mov_b32 s1, 0xbfe6a09e
	s_mov_b32 s3, 0x3fe6a09e
	s_mov_b32 s2, s0
	s_mov_b32 s10, 0xcf328d46
	s_mov_b32 s11, 0xbfed906b
	s_mov_b32 s17, 0x3fed906b
	s_mov_b32 s16, s10
	s_mov_b32 s12, 0xa6aea964
	s_mov_b32 s13, 0x3fd87de2
	s_mov_b32 s15, 0xbfd87de2
	s_mov_b32 s14, s12
	s_waitcnt lgkmcnt(1)
	v_mul_f64 v[8:9], v[70:71], v[2:3]
	s_delay_alu instid0(VALU_DEP_1) | instskip(SKIP_1) | instid1(VALU_DEP_1)
	v_fma_f64 v[24:25], v[68:69], v[0:1], v[8:9]
	v_mul_f64 v[0:1], v[70:71], v[0:1]
	v_fma_f64 v[26:27], v[68:69], v[2:3], -v[0:1]
	ds_load_b128 v[0:3], v34 offset:864
	ds_load_b128 v[8:11], v34 offset:1296
	s_waitcnt lgkmcnt(1)
	v_mul_f64 v[12:13], v[66:67], v[2:3]
	s_delay_alu instid0(VALU_DEP_1) | instskip(SKIP_1) | instid1(VALU_DEP_1)
	v_fma_f64 v[28:29], v[64:65], v[0:1], v[12:13]
	v_mul_f64 v[0:1], v[66:67], v[0:1]
	v_fma_f64 v[30:31], v[64:65], v[2:3], -v[0:1]
	s_waitcnt lgkmcnt(0)
	v_mul_f64 v[0:1], v[62:63], v[10:11]
	s_delay_alu instid0(VALU_DEP_1) | instskip(SKIP_1) | instid1(VALU_DEP_1)
	v_fma_f64 v[35:36], v[60:61], v[8:9], v[0:1]
	v_mul_f64 v[0:1], v[62:63], v[8:9]
	v_fma_f64 v[37:38], v[60:61], v[10:11], -v[0:1]
	ds_load_b128 v[0:3], v34 offset:1728
	ds_load_b128 v[8:11], v34 offset:2160
	s_waitcnt lgkmcnt(1)
	v_mul_f64 v[12:13], v[74:75], v[2:3]
	s_delay_alu instid0(VALU_DEP_1) | instskip(SKIP_1) | instid1(VALU_DEP_1)
	v_fma_f64 v[39:40], v[72:73], v[0:1], v[12:13]
	v_mul_f64 v[0:1], v[74:75], v[0:1]
	v_fma_f64 v[41:42], v[72:73], v[2:3], -v[0:1]
	s_waitcnt lgkmcnt(0)
	v_mul_f64 v[0:1], v[98:99], v[10:11]
	s_delay_alu instid0(VALU_DEP_1) | instskip(SKIP_1) | instid1(VALU_DEP_1)
	v_fma_f64 v[43:44], v[96:97], v[8:9], v[0:1]
	v_mul_f64 v[0:1], v[98:99], v[8:9]
	v_fma_f64 v[45:46], v[96:97], v[10:11], -v[0:1]
	ds_load_b128 v[0:3], v34 offset:2592
	ds_load_b128 v[8:11], v34 offset:3024
	s_waitcnt lgkmcnt(1)
	v_mul_f64 v[12:13], v[82:83], v[2:3]
	s_delay_alu instid0(VALU_DEP_1) | instskip(SKIP_1) | instid1(VALU_DEP_1)
	v_fma_f64 v[47:48], v[80:81], v[0:1], v[12:13]
	v_mul_f64 v[0:1], v[82:83], v[0:1]
	v_fma_f64 v[50:51], v[80:81], v[2:3], -v[0:1]
	s_waitcnt lgkmcnt(0)
	v_mul_f64 v[0:1], v[102:103], v[10:11]
	s_delay_alu instid0(VALU_DEP_1) | instskip(SKIP_1) | instid1(VALU_DEP_1)
	v_fma_f64 v[52:53], v[100:101], v[8:9], v[0:1]
	v_mul_f64 v[0:1], v[102:103], v[8:9]
	v_fma_f64 v[54:55], v[100:101], v[10:11], -v[0:1]
	ds_load_b128 v[0:3], v34 offset:3456
	ds_load_b128 v[8:11], v34 offset:3888
	s_waitcnt lgkmcnt(1)
	v_mul_f64 v[12:13], v[86:87], v[2:3]
	s_delay_alu instid0(VALU_DEP_1) | instskip(SKIP_1) | instid1(VALU_DEP_1)
	v_fma_f64 v[56:57], v[84:85], v[0:1], v[12:13]
	v_mul_f64 v[0:1], v[86:87], v[0:1]
	v_fma_f64 v[58:59], v[84:85], v[2:3], -v[0:1]
	ds_load_b128 v[0:3], v34 offset:5184
	ds_load_b128 v[12:15], v34 offset:5616
	s_waitcnt lgkmcnt(1)
	v_mul_f64 v[16:17], v[106:107], v[2:3]
	s_delay_alu instid0(VALU_DEP_1) | instskip(SKIP_1) | instid1(VALU_DEP_2)
	v_fma_f64 v[60:61], v[104:105], v[0:1], v[16:17]
	v_mul_f64 v[0:1], v[106:107], v[0:1]
	v_add_f64 v[60:61], v[39:40], -v[60:61]
	s_delay_alu instid0(VALU_DEP_2)
	v_fma_f64 v[62:63], v[104:105], v[2:3], -v[0:1]
	ds_load_b128 v[0:3], v34 offset:4320
	ds_load_b128 v[16:19], v34 offset:4752
	s_waitcnt lgkmcnt(1)
	v_mul_f64 v[20:21], v[110:111], v[2:3]
	v_add_f64 v[62:63], v[41:42], -v[62:63]
	s_delay_alu instid0(VALU_DEP_2) | instskip(SKIP_1) | instid1(VALU_DEP_2)
	v_fma_f64 v[64:65], v[108:109], v[0:1], v[20:21]
	v_mul_f64 v[0:1], v[110:111], v[0:1]
	v_add_f64 v[64:65], v[28:29], -v[64:65]
	s_delay_alu instid0(VALU_DEP_2)
	v_fma_f64 v[66:67], v[108:109], v[2:3], -v[0:1]
	ds_load_b128 v[0:3], v34 offset:6048
	ds_load_b128 v[20:23], v34 offset:6480
	s_waitcnt lgkmcnt(0)
	s_barrier
	buffer_gl0_inv
	v_mul_f64 v[68:69], v[114:115], v[2:3]
	v_add_f64 v[66:67], v[30:31], -v[66:67]
	s_delay_alu instid0(VALU_DEP_2) | instskip(SKIP_1) | instid1(VALU_DEP_2)
	v_fma_f64 v[68:69], v[112:113], v[0:1], v[68:69]
	v_mul_f64 v[0:1], v[114:115], v[0:1]
	v_add_f64 v[68:69], v[47:48], -v[68:69]
	s_delay_alu instid0(VALU_DEP_2) | instskip(SKIP_1) | instid1(VALU_DEP_2)
	v_fma_f64 v[0:1], v[112:113], v[2:3], -v[0:1]
	v_mul_f64 v[2:3], v[90:91], v[10:11]
	v_add_f64 v[72:73], v[50:51], -v[0:1]
	s_delay_alu instid0(VALU_DEP_2) | instskip(SKIP_2) | instid1(VALU_DEP_3)
	v_fma_f64 v[2:3], v[88:89], v[8:9], v[2:3]
	v_mul_f64 v[8:9], v[90:91], v[8:9]
	v_fma_f64 v[0:1], v[39:40], 2.0, -v[60:61]
	v_add_f64 v[74:75], v[24:25], -v[2:3]
	s_delay_alu instid0(VALU_DEP_3) | instskip(SKIP_2) | instid1(VALU_DEP_4)
	v_fma_f64 v[8:9], v[88:89], v[10:11], -v[8:9]
	v_mul_f64 v[10:11], v[94:95], v[14:15]
	v_fma_f64 v[2:3], v[41:42], 2.0, -v[62:63]
	v_fma_f64 v[24:25], v[24:25], 2.0, -v[74:75]
	s_delay_alu instid0(VALU_DEP_3) | instskip(SKIP_1) | instid1(VALU_DEP_1)
	v_fma_f64 v[10:11], v[92:93], v[12:13], v[10:11]
	v_mul_f64 v[12:13], v[94:95], v[12:13]
	v_fma_f64 v[12:13], v[92:93], v[14:15], -v[12:13]
	v_mul_f64 v[14:15], v[78:79], v[18:19]
	s_delay_alu instid0(VALU_DEP_1) | instskip(SKIP_1) | instid1(VALU_DEP_1)
	v_fma_f64 v[14:15], v[76:77], v[16:17], v[14:15]
	v_mul_f64 v[16:17], v[78:79], v[16:17]
	v_fma_f64 v[16:17], v[76:77], v[18:19], -v[16:17]
	v_mul_f64 v[18:19], v[118:119], v[20:21]
	v_add_f64 v[76:77], v[26:27], -v[8:9]
	v_add_f64 v[8:9], v[43:44], -v[10:11]
	;; [unrolled: 1-line block ×5, first 2 shown]
	v_fma_f64 v[18:19], v[116:117], v[22:23], -v[18:19]
	v_mul_f64 v[22:23], v[118:119], v[22:23]
	v_fma_f64 v[26:27], v[26:27], 2.0, -v[76:77]
	v_fma_f64 v[39:40], v[45:46], 2.0, -v[10:11]
	;; [unrolled: 1-line block ×3, first 2 shown]
	v_add_f64 v[90:91], v[76:77], -v[8:9]
	v_add_f64 v[88:89], v[74:75], v[10:11]
	v_fma_f64 v[37:38], v[37:38], 2.0, -v[14:15]
	v_add_f64 v[16:17], v[54:55], -v[18:19]
	v_fma_f64 v[20:21], v[116:117], v[20:21], v[22:23]
	v_add_f64 v[22:23], v[4:5], -v[56:57]
	v_add_f64 v[56:57], v[6:7], -v[58:59]
	;; [unrolled: 1-line block ×3, first 2 shown]
	v_fma_f64 v[74:75], v[74:75], 2.0, -v[88:89]
	v_fma_f64 v[41:42], v[54:55], 2.0, -v[16:17]
	v_add_f64 v[18:19], v[52:53], -v[20:21]
	v_fma_f64 v[58:59], v[4:5], 2.0, -v[22:23]
	v_fma_f64 v[70:71], v[6:7], 2.0, -v[56:57]
	;; [unrolled: 1-line block ×7, first 2 shown]
	v_add_f64 v[72:73], v[64:65], v[72:73]
	v_add_f64 v[68:69], v[66:67], -v[68:69]
	v_add_f64 v[16:17], v[12:13], v[16:17]
	v_add_f64 v[41:42], v[37:38], -v[41:42]
	v_fma_f64 v[43:44], v[52:53], 2.0, -v[18:19]
	v_add_f64 v[45:46], v[58:59], -v[0:1]
	v_add_f64 v[47:48], v[70:71], -v[2:3]
	;; [unrolled: 1-line block ×6, first 2 shown]
	v_fma_f64 v[12:13], v[12:13], 2.0, -v[16:17]
	v_add_f64 v[43:44], v[35:36], -v[43:44]
	v_fma_f64 v[10:11], v[18:19], s[2:3], v[90:91]
	v_fma_f64 v[14:15], v[14:15], 2.0, -v[18:19]
	v_add_f64 v[78:79], v[47:48], -v[50:51]
	v_add_f64 v[4:5], v[30:31], v[41:42]
	v_add_f64 v[54:55], v[45:46], v[52:53]
	v_add_f64 v[6:7], v[39:40], -v[43:44]
	v_fma_f64 v[10:11], v[16:17], s[0:1], v[10:11]
	v_fma_f64 v[84:85], v[47:48], 2.0, -v[78:79]
	v_fma_f64 v[80:81], v[30:31], 2.0, -v[4:5]
	v_fma_f64 v[0:1], v[4:5], s[2:3], v[54:55]
	v_fma_f64 v[82:83], v[45:46], 2.0, -v[54:55]
	v_fma_f64 v[45:46], v[58:59], 2.0, -v[45:46]
	;; [unrolled: 1-line block ×3, first 2 shown]
	v_fma_f64 v[2:3], v[6:7], s[2:3], v[78:79]
	v_fma_f64 v[0:1], v[6:7], s[2:3], v[0:1]
	s_delay_alu instid0(VALU_DEP_2) | instskip(SKIP_3) | instid1(VALU_DEP_3)
	v_fma_f64 v[2:3], v[4:5], s[0:1], v[2:3]
	v_fma_f64 v[4:5], v[39:40], 2.0, -v[6:7]
	v_fma_f64 v[6:7], v[80:81], s[0:1], v[82:83]
	v_fma_f64 v[39:40], v[26:27], 2.0, -v[39:40]
	v_fma_f64 v[86:87], v[4:5], s[0:1], v[84:85]
	s_delay_alu instid0(VALU_DEP_3) | instskip(NEXT) | instid1(VALU_DEP_2)
	v_fma_f64 v[4:5], v[4:5], s[2:3], v[6:7]
	v_fma_f64 v[6:7], v[80:81], s[0:1], v[86:87]
	v_add_f64 v[80:81], v[22:23], v[62:63]
	v_add_f64 v[86:87], v[56:57], -v[60:61]
	s_delay_alu instid0(VALU_DEP_2) | instskip(NEXT) | instid1(VALU_DEP_2)
	v_fma_f64 v[8:9], v[72:73], s[2:3], v[80:81]
	v_fma_f64 v[56:57], v[56:57], 2.0, -v[86:87]
	s_delay_alu instid0(VALU_DEP_2) | instskip(SKIP_1) | instid1(VALU_DEP_2)
	v_fma_f64 v[92:93], v[68:69], s[2:3], v[8:9]
	v_fma_f64 v[8:9], v[68:69], s[2:3], v[86:87]
	v_fma_f64 v[98:99], v[80:81], 2.0, -v[92:93]
	s_delay_alu instid0(VALU_DEP_2)
	v_fma_f64 v[94:95], v[72:73], s[0:1], v[8:9]
	v_fma_f64 v[8:9], v[16:17], s[2:3], v[88:89]
	v_fma_f64 v[16:17], v[64:65], 2.0, -v[72:73]
	v_fma_f64 v[64:65], v[76:77], 2.0, -v[90:91]
	;; [unrolled: 1-line block ×4, first 2 shown]
	v_fma_f64 v[62:63], v[10:11], s[16:17], v[94:95]
	v_fma_f64 v[8:9], v[18:19], s[2:3], v[8:9]
	;; [unrolled: 1-line block ×3, first 2 shown]
	v_fma_f64 v[100:101], v[86:87], 2.0, -v[94:95]
	s_delay_alu instid0(VALU_DEP_3) | instskip(NEXT) | instid1(VALU_DEP_3)
	v_fma_f64 v[60:61], v[8:9], s[16:17], v[92:93]
	v_fma_f64 v[66:67], v[14:15], s[2:3], v[18:19]
	;; [unrolled: 1-line block ×3, first 2 shown]
	v_fma_f64 v[18:19], v[28:29], 2.0, -v[52:53]
	v_fma_f64 v[62:63], v[8:9], s[14:15], v[62:63]
	v_fma_f64 v[96:97], v[88:89], 2.0, -v[8:9]
	v_fma_f64 v[8:9], v[90:91], 2.0, -v[10:11]
	v_fma_f64 v[60:61], v[10:11], s[12:13], v[60:61]
	v_fma_f64 v[68:69], v[12:13], s[0:1], v[14:15]
	;; [unrolled: 1-line block ×5, first 2 shown]
	v_fma_f64 v[28:29], v[92:93], 2.0, -v[60:61]
	s_delay_alu instid0(VALU_DEP_4)
	v_fma_f64 v[72:73], v[16:17], s[0:1], v[12:13]
	v_fma_f64 v[12:13], v[16:17], s[0:1], v[80:81]
	v_fma_f64 v[16:17], v[20:21], 2.0, -v[50:51]
	v_fma_f64 v[50:51], v[24:25], 2.0, -v[30:31]
	v_fma_f64 v[20:21], v[37:38], 2.0, -v[41:42]
	v_add_f64 v[37:38], v[47:48], -v[18:19]
	v_fma_f64 v[8:9], v[8:9], s[16:17], v[10:11]
	v_fma_f64 v[10:11], v[96:97], s[10:11], v[102:103]
	v_fma_f64 v[30:31], v[94:95], 2.0, -v[62:63]
	v_fma_f64 v[56:57], v[56:57], 2.0, -v[72:73]
	v_fma_f64 v[76:77], v[22:23], s[2:3], v[12:13]
	v_fma_f64 v[22:23], v[35:36], 2.0, -v[43:44]
	v_add_f64 v[35:36], v[45:46], -v[16:17]
	v_add_f64 v[41:42], v[39:40], -v[20:21]
	v_fma_f64 v[12:13], v[68:69], s[12:13], v[72:73]
	v_fma_f64 v[24:25], v[66:67], s[12:13], v[76:77]
	v_add_f64 v[43:44], v[50:51], -v[22:23]
	v_fma_f64 v[52:53], v[80:81], 2.0, -v[76:77]
	v_add_f64 v[16:17], v[35:36], v[41:42]
	v_fma_f64 v[14:15], v[66:67], s[10:11], v[12:13]
	v_fma_f64 v[12:13], v[68:69], s[16:17], v[24:25]
	v_add_f64 v[18:19], v[37:38], -v[43:44]
	s_delay_alu instid0(VALU_DEP_4) | instskip(NEXT) | instid1(VALU_DEP_2)
	v_fma_f64 v[20:21], v[35:36], 2.0, -v[16:17]
	v_fma_f64 v[22:23], v[37:38], 2.0, -v[18:19]
	ds_store_b128 v33, v[16:19] offset:576
	v_fma_f64 v[18:19], v[74:75], 2.0, -v[66:67]
	v_fma_f64 v[16:17], v[64:65], 2.0, -v[68:69]
	s_delay_alu instid0(VALU_DEP_2) | instskip(NEXT) | instid1(VALU_DEP_2)
	v_fma_f64 v[24:25], v[18:19], s[10:11], v[52:53]
	v_fma_f64 v[26:27], v[16:17], s[10:11], v[56:57]
	s_delay_alu instid0(VALU_DEP_2) | instskip(NEXT) | instid1(VALU_DEP_2)
	v_fma_f64 v[16:17], v[16:17], s[12:13], v[24:25]
	v_fma_f64 v[18:19], v[18:19], s[14:15], v[26:27]
	v_fma_f64 v[24:25], v[54:55], 2.0, -v[0:1]
	v_fma_f64 v[26:27], v[78:79], 2.0, -v[2:3]
	ds_store_b128 v33, v[24:27] offset:288
	ds_store_b128 v33, v[28:31] offset:336
	;; [unrolled: 1-line block ×5, first 2 shown]
	v_fma_f64 v[28:29], v[45:46], 2.0, -v[35:36]
	v_fma_f64 v[30:31], v[47:48], 2.0, -v[37:38]
	;; [unrolled: 1-line block ×12, first 2 shown]
	v_add_f64 v[0:1], v[28:29], -v[0:1]
	v_add_f64 v[2:3], v[30:31], -v[2:3]
	s_delay_alu instid0(VALU_DEP_2) | instskip(NEXT) | instid1(VALU_DEP_2)
	v_fma_f64 v[28:29], v[28:29], 2.0, -v[0:1]
	v_fma_f64 v[30:31], v[30:31], 2.0, -v[2:3]
	ds_store_b128 v33, v[60:63] offset:720
	ds_store_b128 v33, v[12:15] offset:624
	;; [unrolled: 1-line block ×8, first 2 shown]
	ds_store_b128 v33, v[28:31]
	ds_store_b128 v33, v[35:38] offset:48
	s_waitcnt lgkmcnt(0)
	s_barrier
	buffer_gl0_inv
	ds_load_b128 v[80:83], v34
	ds_load_b128 v[76:79], v34 offset:432
	ds_load_b128 v[84:87], v34 offset:4608
	ds_load_b128 v[20:23], v34 offset:5040
	ds_load_b128 v[28:31], v34 offset:2736
	ds_load_b128 v[12:15], v34 offset:3168
	ds_load_b128 v[72:75], v34 offset:864
	ds_load_b128 v[68:71], v34 offset:1296
	ds_load_b128 v[16:19], v34 offset:5472
	ds_load_b128 v[4:7], v34 offset:5904
	ds_load_b128 v[88:91], v34 offset:2304
	ds_load_b128 v[64:67], v34 offset:1728
	ds_load_b128 v[24:27], v34 offset:3600
	ds_load_b128 v[8:11], v34 offset:4032
	ds_load_b128 v[0:3], v34 offset:6336
	s_and_saveexec_b32 s0, vcc_lo
	s_cbranch_execz .LBB0_23
; %bb.22:
	ds_load_b128 v[60:63], v34 offset:2160
	ds_load_b128 v[228:231], v34 offset:4464
	;; [unrolled: 1-line block ×3, first 2 shown]
.LBB0_23:
	s_or_b32 exec_lo, exec_lo, s0
	s_waitcnt lgkmcnt(10)
	v_mul_f64 v[43:44], v[138:139], v[30:31]
	v_mul_f64 v[39:40], v[130:131], v[86:87]
	v_mul_f64 v[41:42], v[130:131], v[84:85]
	s_waitcnt lgkmcnt(4)
	v_mul_f64 v[35:36], v[122:123], v[90:91]
	v_mul_f64 v[37:38], v[122:123], v[88:89]
	s_mov_b32 s0, 0xe8584caa
	s_mov_b32 s1, 0xbfebb67a
	;; [unrolled: 1-line block ×4, first 2 shown]
	s_waitcnt lgkmcnt(0)
	s_barrier
	buffer_gl0_inv
	v_fma_f64 v[43:44], v[136:137], v[28:29], v[43:44]
	v_mul_f64 v[28:29], v[138:139], v[28:29]
	v_fma_f64 v[39:40], v[128:129], v[84:85], v[39:40]
	v_fma_f64 v[41:42], v[128:129], v[86:87], -v[41:42]
	v_fma_f64 v[35:36], v[120:121], v[88:89], v[35:36]
	v_fma_f64 v[37:38], v[120:121], v[90:91], -v[37:38]
	v_fma_f64 v[28:29], v[136:137], v[30:31], -v[28:29]
	v_mul_f64 v[30:31], v[142:143], v[22:23]
	s_delay_alu instid0(VALU_DEP_1) | instskip(SKIP_1) | instid1(VALU_DEP_1)
	v_fma_f64 v[30:31], v[140:141], v[20:21], v[30:31]
	v_mul_f64 v[20:21], v[142:143], v[20:21]
	v_fma_f64 v[20:21], v[140:141], v[22:23], -v[20:21]
	v_mul_f64 v[22:23], v[126:127], v[14:15]
	s_delay_alu instid0(VALU_DEP_1) | instskip(SKIP_1) | instid1(VALU_DEP_1)
	v_fma_f64 v[45:46], v[124:125], v[12:13], v[22:23]
	v_mul_f64 v[12:13], v[126:127], v[12:13]
	v_fma_f64 v[47:48], v[124:125], v[14:15], -v[12:13]
	v_mul_f64 v[12:13], v[134:135], v[18:19]
	s_delay_alu instid0(VALU_DEP_1) | instskip(SKIP_2) | instid1(VALU_DEP_2)
	v_fma_f64 v[50:51], v[132:133], v[16:17], v[12:13]
	v_mul_f64 v[12:13], v[134:135], v[16:17]
	v_add_f64 v[16:17], v[76:77], v[43:44]
	v_fma_f64 v[52:53], v[132:133], v[18:19], -v[12:13]
	v_mul_f64 v[12:13], v[146:147], v[26:27]
	s_delay_alu instid0(VALU_DEP_1) | instskip(SKIP_1) | instid1(VALU_DEP_1)
	v_fma_f64 v[54:55], v[144:145], v[24:25], v[12:13]
	v_mul_f64 v[12:13], v[146:147], v[24:25]
	v_fma_f64 v[24:25], v[144:145], v[26:27], -v[12:13]
	v_mul_f64 v[12:13], v[150:151], v[6:7]
	s_delay_alu instid0(VALU_DEP_1) | instskip(SKIP_2) | instid1(VALU_DEP_2)
	v_fma_f64 v[26:27], v[148:149], v[4:5], v[12:13]
	v_mul_f64 v[4:5], v[150:151], v[4:5]
	v_add_f64 v[12:13], v[35:36], -v[39:40]
	v_fma_f64 v[56:57], v[148:149], v[6:7], -v[4:5]
	v_mul_f64 v[4:5], v[154:155], v[10:11]
	s_delay_alu instid0(VALU_DEP_1) | instskip(SKIP_2) | instid1(VALU_DEP_2)
	v_fma_f64 v[58:59], v[152:153], v[8:9], v[4:5]
	v_mul_f64 v[4:5], v[154:155], v[8:9]
	v_add_f64 v[8:9], v[37:38], -v[41:42]
	v_fma_f64 v[84:85], v[152:153], v[10:11], -v[4:5]
	v_mul_f64 v[4:5], v[162:163], v[2:3]
	s_delay_alu instid0(VALU_DEP_1) | instskip(SKIP_2) | instid1(VALU_DEP_2)
	v_fma_f64 v[86:87], v[160:161], v[0:1], v[4:5]
	v_mul_f64 v[0:1], v[162:163], v[0:1]
	v_add_f64 v[4:5], v[80:81], v[35:36]
	v_fma_f64 v[88:89], v[160:161], v[2:3], -v[0:1]
	v_mul_f64 v[0:1], v[170:171], v[230:231]
	s_delay_alu instid0(VALU_DEP_1) | instskip(SKIP_1) | instid1(VALU_DEP_1)
	v_fma_f64 v[90:91], v[168:169], v[228:229], v[0:1]
	v_mul_f64 v[0:1], v[170:171], v[228:229]
	v_fma_f64 v[92:93], v[168:169], v[230:231], -v[0:1]
	v_mul_f64 v[0:1], v[174:175], v[234:235]
	s_delay_alu instid0(VALU_DEP_1) | instskip(SKIP_1) | instid1(VALU_DEP_1)
	v_fma_f64 v[94:95], v[172:173], v[232:233], v[0:1]
	v_mul_f64 v[0:1], v[174:175], v[232:233]
	v_fma_f64 v[96:97], v[172:173], v[234:235], -v[0:1]
	v_add_f64 v[0:1], v[35:36], v[39:40]
	v_add_f64 v[35:36], v[62:63], v[92:93]
	s_delay_alu instid0(VALU_DEP_2) | instskip(SKIP_1) | instid1(VALU_DEP_1)
	v_fma_f64 v[6:7], v[0:1], -0.5, v[80:81]
	v_add_f64 v[0:1], v[37:38], v[41:42]
	v_fma_f64 v[10:11], v[0:1], -0.5, v[82:83]
	v_add_f64 v[0:1], v[82:83], v[37:38]
	v_add_f64 v[37:38], v[60:61], v[90:91]
	s_delay_alu instid0(VALU_DEP_2)
	v_add_f64 v[2:3], v[0:1], v[41:42]
	v_add_f64 v[0:1], v[4:5], v[39:40]
	v_fma_f64 v[4:5], v[8:9], s[0:1], v[6:7]
	v_fma_f64 v[8:9], v[8:9], s[2:3], v[6:7]
	v_fma_f64 v[6:7], v[12:13], s[2:3], v[10:11]
	v_fma_f64 v[10:11], v[12:13], s[0:1], v[10:11]
	v_add_f64 v[12:13], v[43:44], v[30:31]
	v_add_f64 v[39:40], v[92:93], -v[96:97]
	ds_store_b128 v34, v[0:3]
	ds_store_b128 v34, v[4:7] offset:768
	ds_store_b128 v34, v[8:11] offset:1536
	scratch_load_b32 v0, off, off offset:304 ; 4-byte Folded Reload
	v_add_f64 v[2:3], v[74:75], v[47:48]
	v_fma_f64 v[18:19], v[12:13], -0.5, v[76:77]
	v_add_f64 v[12:13], v[28:29], v[20:21]
	v_add_f64 v[8:9], v[47:48], -v[52:53]
	v_add_f64 v[10:11], v[45:46], -v[50:51]
	v_add_f64 v[2:3], v[2:3], v[52:53]
	s_delay_alu instid0(VALU_DEP_4) | instskip(SKIP_2) | instid1(VALU_DEP_2)
	v_fma_f64 v[22:23], v[12:13], -0.5, v[78:79]
	v_add_f64 v[12:13], v[78:79], v[28:29]
	v_add_f64 v[28:29], v[28:29], -v[20:21]
	v_add_f64 v[14:15], v[12:13], v[20:21]
	v_add_f64 v[12:13], v[16:17], v[30:31]
	v_add_f64 v[30:31], v[43:44], -v[30:31]
	s_delay_alu instid0(VALU_DEP_4) | instskip(SKIP_2) | instid1(VALU_DEP_4)
	v_fma_f64 v[16:17], v[28:29], s[0:1], v[18:19]
	v_fma_f64 v[20:21], v[28:29], s[2:3], v[18:19]
	v_add_f64 v[28:29], v[58:59], -v[86:87]
	v_fma_f64 v[18:19], v[30:31], s[2:3], v[22:23]
	v_fma_f64 v[22:23], v[30:31], s[0:1], v[22:23]
	v_add_f64 v[30:31], v[92:93], v[96:97]
	s_waitcnt vmcnt(0)
	ds_store_b128 v0, v[12:15]
	ds_store_b128 v0, v[16:19] offset:768
	ds_store_b128 v0, v[20:23] offset:1536
	scratch_load_b32 v12, off, off offset:300 ; 4-byte Folded Reload
	v_add_f64 v[0:1], v[45:46], v[50:51]
	v_add_f64 v[16:17], v[54:55], -v[26:27]
	v_add_f64 v[20:21], v[64:65], v[58:59]
	v_fma_f64 v[30:31], v[30:31], -0.5, v[62:63]
	v_add_f64 v[62:63], v[35:36], v[96:97]
	v_add_f64 v[35:36], v[90:91], -v[94:95]
	v_fma_f64 v[4:5], v[0:1], -0.5, v[72:73]
	v_add_f64 v[0:1], v[47:48], v[52:53]
	s_delay_alu instid0(VALU_DEP_1) | instskip(SKIP_1) | instid1(VALU_DEP_1)
	v_fma_f64 v[6:7], v[0:1], -0.5, v[74:75]
	v_add_f64 v[0:1], v[72:73], v[45:46]
	v_add_f64 v[0:1], v[0:1], v[50:51]
	ds_store_b128 v34, v[0:3] offset:2400
	v_fma_f64 v[0:1], v[8:9], s[0:1], v[4:5]
	v_fma_f64 v[2:3], v[10:11], s[2:3], v[6:7]
	s_waitcnt vmcnt(0)
	ds_store_b128 v12, v[0:3] offset:3072
	v_fma_f64 v[0:1], v[8:9], s[2:3], v[4:5]
	v_fma_f64 v[2:3], v[10:11], s[0:1], v[6:7]
	v_add_f64 v[4:5], v[54:55], v[26:27]
	v_add_f64 v[8:9], v[68:69], v[54:55]
	v_add_f64 v[12:13], v[24:25], -v[56:57]
	ds_store_b128 v34, v[0:3] offset:3936
	scratch_load_b32 v0, off, off offset:296 ; 4-byte Folded Reload
	v_fma_f64 v[10:11], v[4:5], -0.5, v[68:69]
	v_add_f64 v[4:5], v[24:25], v[56:57]
	s_delay_alu instid0(VALU_DEP_1) | instskip(SKIP_3) | instid1(VALU_DEP_3)
	v_fma_f64 v[14:15], v[4:5], -0.5, v[70:71]
	v_add_f64 v[4:5], v[70:71], v[24:25]
	v_add_f64 v[24:25], v[84:85], -v[88:89]
	v_fma_f64 v[70:71], v[35:36], s[0:1], v[30:31]
	v_add_f64 v[6:7], v[4:5], v[56:57]
	v_add_f64 v[4:5], v[8:9], v[26:27]
	v_fma_f64 v[8:9], v[12:13], s[0:1], v[10:11]
	v_fma_f64 v[12:13], v[12:13], s[2:3], v[10:11]
	;; [unrolled: 1-line block ×4, first 2 shown]
	v_add_f64 v[16:17], v[58:59], v[86:87]
	s_waitcnt vmcnt(0)
	ds_store_b128 v0, v[4:7]
	ds_store_b128 v0, v[8:11] offset:768
	ds_store_b128 v0, v[12:15] offset:1536
	scratch_load_b32 v0, off, off offset:292 ; 4-byte Folded Reload
	v_fma_f64 v[22:23], v[16:17], -0.5, v[64:65]
	v_add_f64 v[16:17], v[84:85], v[88:89]
	s_delay_alu instid0(VALU_DEP_1) | instskip(SKIP_2) | instid1(VALU_DEP_2)
	v_fma_f64 v[26:27], v[16:17], -0.5, v[66:67]
	v_add_f64 v[16:17], v[66:67], v[84:85]
	v_fma_f64 v[66:67], v[35:36], s[2:3], v[30:31]
	v_add_f64 v[18:19], v[16:17], v[88:89]
	v_add_f64 v[16:17], v[20:21], v[86:87]
	v_fma_f64 v[20:21], v[24:25], s[0:1], v[22:23]
	v_fma_f64 v[24:25], v[24:25], s[2:3], v[22:23]
	;; [unrolled: 1-line block ×4, first 2 shown]
	v_add_f64 v[28:29], v[90:91], v[94:95]
	s_waitcnt vmcnt(0)
	ds_store_b128 v0, v[16:19] offset:4608
	ds_store_b128 v0, v[20:23] offset:5376
	;; [unrolled: 1-line block ×3, first 2 shown]
	v_fma_f64 v[28:29], v[28:29], -0.5, v[60:61]
	v_add_f64 v[60:61], v[37:38], v[94:95]
	s_delay_alu instid0(VALU_DEP_2)
	v_fma_f64 v[64:65], v[39:40], s[0:1], v[28:29]
	v_fma_f64 v[68:69], v[39:40], s[2:3], v[28:29]
	s_and_saveexec_b32 s0, vcc_lo
	s_cbranch_execz .LBB0_25
; %bb.24:
	scratch_load_b32 v0, off, off offset:284 ; 4-byte Folded Reload
	s_waitcnt vmcnt(0)
	v_lshl_add_u32 v0, v0, 4, v49
	ds_store_b128 v0, v[60:63] offset:4608
	ds_store_b128 v0, v[64:67] offset:5376
	;; [unrolled: 1-line block ×3, first 2 shown]
.LBB0_25:
	s_or_b32 exec_lo, exec_lo, s0
	s_waitcnt lgkmcnt(0)
	s_barrier
	buffer_gl0_inv
	ds_load_b128 v[76:79], v34
	ds_load_b128 v[72:75], v34 offset:432
	ds_load_b128 v[12:15], v34 offset:4608
	;; [unrolled: 1-line block ×14, first 2 shown]
	scratch_load_b32 v33, off, off offset:308 ; 4-byte Folded Reload
	s_waitcnt vmcnt(0)
	v_add_nc_u32_e32 v33, 0x6c0, v33
	s_and_saveexec_b32 s0, vcc_lo
	s_cbranch_execz .LBB0_27
; %bb.26:
	ds_load_b128 v[60:63], v34 offset:2160
	ds_load_b128 v[64:67], v34 offset:4464
	ds_load_b128 v[68:71], v34 offset:6768
.LBB0_27:
	s_or_b32 exec_lo, exec_lo, s0
	s_waitcnt lgkmcnt(4)
	v_mul_f64 v[35:36], v[178:179], v[98:99]
	v_mul_f64 v[37:38], v[182:183], v[14:15]
	;; [unrolled: 1-line block ×12, first 2 shown]
	s_waitcnt lgkmcnt(2)
	v_mul_f64 v[100:101], v[202:203], v[94:95]
	v_mul_f64 v[102:103], v[206:207], v[10:11]
	;; [unrolled: 1-line block ×4, first 2 shown]
	s_waitcnt lgkmcnt(1)
	v_mul_f64 v[108:109], v[210:211], v[22:23]
	s_waitcnt lgkmcnt(0)
	v_mul_f64 v[110:111], v[214:215], v[26:27]
	v_mul_f64 v[112:113], v[210:211], v[20:21]
	v_mul_f64 v[114:115], v[214:215], v[24:25]
	s_mov_b32 s0, 0xe8584caa
	s_mov_b32 s1, 0xbfebb67a
	;; [unrolled: 1-line block ×3, first 2 shown]
	v_fma_f64 v[35:36], v[176:177], v[96:97], v[35:36]
	v_fma_f64 v[12:13], v[180:181], v[12:13], v[37:38]
	v_fma_f64 v[37:38], v[176:177], v[98:99], -v[39:40]
	v_fma_f64 v[16:17], v[184:185], v[16:17], v[43:44]
	v_fma_f64 v[39:40], v[188:189], v[0:1], v[45:46]
	v_fma_f64 v[0:1], v[184:185], v[18:19], -v[47:48]
	v_fma_f64 v[18:19], v[188:189], v[2:3], -v[49:50]
	;; [unrolled: 1-line block ×3, first 2 shown]
	v_fma_f64 v[2:3], v[192:193], v[4:5], v[51:52]
	v_fma_f64 v[28:29], v[196:197], v[28:29], v[53:54]
	v_fma_f64 v[4:5], v[192:193], v[6:7], -v[55:56]
	v_fma_f64 v[30:31], v[196:197], v[30:31], -v[57:58]
	v_fma_f64 v[6:7], v[200:201], v[92:93], v[100:101]
	v_fma_f64 v[41:42], v[204:205], v[8:9], v[102:103]
	v_fma_f64 v[8:9], v[200:201], v[94:95], -v[104:105]
	v_fma_f64 v[43:44], v[204:205], v[10:11], -v[106:107]
	;; [unrolled: 4-line block ×3, first 2 shown]
	v_add_f64 v[96:97], v[76:77], v[35:36]
	v_add_f64 v[26:27], v[35:36], v[12:13]
	v_add_f64 v[35:36], v[35:36], -v[12:13]
	v_add_f64 v[100:101], v[72:73], v[16:17]
	v_add_f64 v[47:48], v[16:17], v[39:40]
	;; [unrolled: 1-line block ×5, first 2 shown]
	v_add_f64 v[98:99], v[37:38], -v[14:15]
	v_add_f64 v[51:52], v[2:3], v[28:29]
	v_add_f64 v[37:38], v[78:79], v[37:38]
	;; [unrolled: 1-line block ×13, first 2 shown]
	v_fma_f64 v[26:27], v[26:27], -0.5, v[76:77]
	v_add_f64 v[76:77], v[0:1], -v[18:19]
	v_add_f64 v[0:1], v[96:97], v[12:13]
	v_fma_f64 v[47:48], v[47:48], -0.5, v[72:73]
	v_add_f64 v[72:73], v[16:17], -v[39:40]
	v_fma_f64 v[49:50], v[49:50], -0.5, v[74:75]
	v_fma_f64 v[45:46], v[45:46], -0.5, v[78:79]
	v_add_f64 v[74:75], v[4:5], -v[30:31]
	v_fma_f64 v[51:52], v[51:52], -0.5, v[88:89]
	v_add_f64 v[78:79], v[2:3], -v[28:29]
	v_fma_f64 v[53:54], v[53:54], -0.5, v[90:91]
	v_add_f64 v[88:89], v[8:9], -v[43:44]
	v_fma_f64 v[55:56], v[55:56], -0.5, v[80:81]
	v_add_f64 v[80:81], v[6:7], -v[41:42]
	v_fma_f64 v[57:58], v[57:58], -0.5, v[82:83]
	v_add_f64 v[82:83], v[22:23], -v[24:25]
	v_fma_f64 v[84:85], v[92:93], -0.5, v[84:85]
	v_add_f64 v[90:91], v[10:11], -v[20:21]
	v_fma_f64 v[86:87], v[94:95], -0.5, v[86:87]
	v_add_f64 v[2:3], v[37:38], v[14:15]
	v_add_f64 v[4:5], v[100:101], v[39:40]
	;; [unrolled: 1-line block ×9, first 2 shown]
	v_fma_f64 v[20:21], v[98:99], s[0:1], v[26:27]
	v_fma_f64 v[24:25], v[98:99], s[2:3], v[26:27]
	v_fma_f64 v[28:29], v[76:77], s[0:1], v[47:48]
	v_fma_f64 v[30:31], v[72:73], s[2:3], v[49:50]
	v_fma_f64 v[22:23], v[35:36], s[2:3], v[45:46]
	v_fma_f64 v[26:27], v[35:36], s[0:1], v[45:46]
	v_fma_f64 v[39:40], v[74:75], s[0:1], v[51:52]
	v_fma_f64 v[35:36], v[76:77], s[2:3], v[47:48]
	v_fma_f64 v[41:42], v[78:79], s[2:3], v[53:54]
	v_fma_f64 v[37:38], v[72:73], s[0:1], v[49:50]
	v_fma_f64 v[43:44], v[74:75], s[2:3], v[51:52]
	v_fma_f64 v[45:46], v[78:79], s[0:1], v[53:54]
	v_fma_f64 v[47:48], v[88:89], s[0:1], v[55:56]
	v_fma_f64 v[49:50], v[80:81], s[2:3], v[57:58]
	v_fma_f64 v[72:73], v[88:89], s[2:3], v[55:56]
	v_fma_f64 v[74:75], v[80:81], s[0:1], v[57:58]
	v_fma_f64 v[76:77], v[82:83], s[0:1], v[84:85]
	v_fma_f64 v[78:79], v[90:91], s[2:3], v[86:87]
	v_fma_f64 v[80:81], v[82:83], s[2:3], v[84:85]
	v_fma_f64 v[82:83], v[90:91], s[0:1], v[86:87]
	ds_store_b128 v34, v[0:3]
	ds_store_b128 v34, v[4:7] offset:432
	ds_store_b128 v34, v[8:11] offset:864
	;; [unrolled: 1-line block ×14, first 2 shown]
	s_and_saveexec_b32 s10, vcc_lo
	s_cbranch_execz .LBB0_29
; %bb.28:
	s_clause 0x1
	scratch_load_b128 v[8:11], off, off offset:316
	scratch_load_b128 v[12:15], off, off offset:332
	s_waitcnt vmcnt(1)
	v_mul_f64 v[0:1], v[10:11], v[64:65]
	s_waitcnt vmcnt(0)
	v_mul_f64 v[2:3], v[14:15], v[68:69]
	v_mul_f64 v[4:5], v[10:11], v[66:67]
	v_mul_f64 v[6:7], v[14:15], v[70:71]
	s_delay_alu instid0(VALU_DEP_4) | instskip(NEXT) | instid1(VALU_DEP_4)
	v_fma_f64 v[0:1], v[8:9], v[66:67], -v[0:1]
	v_fma_f64 v[2:3], v[12:13], v[70:71], -v[2:3]
	s_delay_alu instid0(VALU_DEP_4) | instskip(NEXT) | instid1(VALU_DEP_4)
	v_fma_f64 v[4:5], v[8:9], v[64:65], v[4:5]
	v_fma_f64 v[6:7], v[12:13], v[68:69], v[6:7]
	s_delay_alu instid0(VALU_DEP_4) | instskip(NEXT) | instid1(VALU_DEP_4)
	v_add_f64 v[14:15], v[62:63], v[0:1]
	v_add_f64 v[8:9], v[0:1], v[2:3]
	v_add_f64 v[16:17], v[0:1], -v[2:3]
	s_delay_alu instid0(VALU_DEP_4)
	v_add_f64 v[10:11], v[4:5], v[6:7]
	v_add_f64 v[12:13], v[4:5], -v[6:7]
	v_add_f64 v[4:5], v[60:61], v[4:5]
	v_add_f64 v[2:3], v[14:15], v[2:3]
	v_fma_f64 v[8:9], v[8:9], -0.5, v[62:63]
	v_fma_f64 v[18:19], v[10:11], -0.5, v[60:61]
	s_delay_alu instid0(VALU_DEP_4) | instskip(NEXT) | instid1(VALU_DEP_3)
	v_add_f64 v[0:1], v[4:5], v[6:7]
	v_fma_f64 v[6:7], v[12:13], s[0:1], v[8:9]
	v_fma_f64 v[10:11], v[12:13], s[2:3], v[8:9]
	s_delay_alu instid0(VALU_DEP_4)
	v_fma_f64 v[8:9], v[16:17], s[0:1], v[18:19]
	v_fma_f64 v[4:5], v[16:17], s[2:3], v[18:19]
	ds_store_b128 v34, v[0:3] offset:2160
	ds_store_b128 v34, v[8:11] offset:4464
	;; [unrolled: 1-line block ×3, first 2 shown]
.LBB0_29:
	s_or_b32 exec_lo, exec_lo, s10
	s_waitcnt lgkmcnt(0)
	s_barrier
	buffer_gl0_inv
	ds_load_b128 v[0:3], v34
	ds_load_b128 v[4:7], v34 offset:2304
	ds_load_b128 v[8:11], v34 offset:4608
	;; [unrolled: 1-line block ×5, first 2 shown]
	s_clause 0x2
	scratch_load_b128 v[91:94], off, off offset:16
	scratch_load_b64 v[24:25], off, off offset:8
	scratch_load_b128 v[97:100], off, off offset:184
	v_or_b32_e32 v90, 0x120, v32
	v_mad_u64_u32 v[82:83], null, s4, v32, 0
	s_mul_i32 s1, s5, 0x90
	s_mul_i32 s0, s4, 0x90
	s_delay_alu instid0(VALU_DEP_2) | instskip(SKIP_2) | instid1(VALU_DEP_2)
	v_mad_u64_u32 v[84:85], null, s4, v90, 0
	s_mov_b32 s2, 0xbda12f68
	s_mov_b32 s3, 0x3f62f684
	v_mov_b32_e32 v59, v83
	s_mul_i32 s12, s5, 0xfffff8b0
	s_waitcnt vmcnt(2) lgkmcnt(5)
	v_mul_f64 v[51:52], v[93:94], v[2:3]
	v_mul_f64 v[53:54], v[93:94], v[0:1]
	scratch_load_b128 v[93:96], off, off offset:48 ; 16-byte Folded Reload
	s_waitcnt vmcnt(1) lgkmcnt(4)
	v_mul_f64 v[55:56], v[99:100], v[6:7]
	v_mul_f64 v[57:58], v[99:100], v[4:5]
	scratch_load_b128 v[99:102], off, off offset:216 ; 16-byte Folded Reload
	v_mov_b32_e32 v89, v24
	ds_load_b128 v[24:27], v34 offset:2736
	ds_load_b128 v[28:31], v34 offset:3168
	;; [unrolled: 1-line block ×8, first 2 shown]
	s_clause 0x1
	scratch_load_b128 v[111:114], off, off offset:32
	scratch_load_b128 v[117:120], off, off offset:88
	v_mad_u64_u32 v[80:81], null, s6, v89, 0
	s_clause 0x1
	scratch_load_b128 v[135:138], off, off offset:200
	scratch_load_b128 v[131:134], off, off offset:168
	ds_load_b128 v[68:71], v34 offset:6336
	s_mul_hi_u32 s6, s4, 0x90
	scratch_load_b128 v[127:130], off, off offset:152 ; 16-byte Folded Reload
	s_add_i32 s1, s6, s1
	v_mov_b32_e32 v33, v81
	v_mov_b32_e32 v81, v85
	s_lshl_b64 s[10:11], s[0:1], 4
	s_sub_i32 s1, s12, s4
	v_fma_f64 v[0:1], v[91:92], v[0:1], v[51:52]
	v_fma_f64 v[2:3], v[91:92], v[2:3], -v[53:54]
	v_mad_u64_u32 v[51:52], null, s7, v89, v[33:34]
	v_fma_f64 v[6:7], v[97:98], v[6:7], -v[57:58]
	s_waitcnt lgkmcnt(2)
	v_mad_u64_u32 v[52:53], null, s5, v32, v[59:60]
	v_fma_f64 v[4:5], v[97:98], v[4:5], v[55:56]
	v_mad_u64_u32 v[32:33], null, s5, v90, v[81:82]
	v_mov_b32_e32 v81, v51
	s_delay_alu instid0(VALU_DEP_4) | instskip(NEXT) | instid1(VALU_DEP_2)
	v_mov_b32_e32 v83, v52
	v_lshlrev_b64 v[80:81], 4, v[80:81]
	s_delay_alu instid0(VALU_DEP_2) | instskip(NEXT) | instid1(VALU_DEP_2)
	v_lshlrev_b64 v[82:83], 4, v[82:83]
	v_add_co_u32 v59, s0, s8, v80
	v_mul_f64 v[0:1], v[0:1], s[2:3]
	v_mul_f64 v[2:3], v[2:3], s[2:3]
	v_mul_f64 v[6:7], v[6:7], s[2:3]
	v_mul_f64 v[4:5], v[4:5], s[2:3]
	s_waitcnt vmcnt(6)
	v_mul_f64 v[76:77], v[95:96], v[14:15]
	v_mul_f64 v[78:79], v[95:96], v[12:13]
	s_waitcnt vmcnt(5)
	v_mul_f64 v[72:73], v[101:102], v[10:11]
	v_mul_f64 v[74:75], v[101:102], v[8:9]
	;; [unrolled: 3-line block ×3, first 2 shown]
	s_waitcnt vmcnt(3)
	v_mul_f64 v[57:58], v[119:120], v[37:38]
	scratch_load_b128 v[113:116], off, off offset:72 ; 16-byte Folded Reload
	s_waitcnt vmcnt(3)
	v_mul_f64 v[53:54], v[137:138], v[18:19]
	v_mul_f64 v[55:56], v[137:138], v[16:17]
	scratch_load_b128 v[137:140], off, off offset:232 ; 16-byte Folded Reload
	s_waitcnt vmcnt(2)
	v_mul_f64 v[101:102], v[129:130], v[47:48]
	v_fma_f64 v[12:13], v[93:94], v[12:13], v[76:77]
	v_fma_f64 v[14:15], v[93:94], v[14:15], -v[78:79]
	v_fma_f64 v[8:9], v[99:100], v[8:9], v[72:73]
	v_mul_f64 v[72:73], v[119:120], v[35:36]
	scratch_load_b128 v[119:122], off, off offset:104 ; 16-byte Folded Reload
	v_fma_f64 v[10:11], v[99:100], v[10:11], -v[74:75]
	v_fma_f64 v[24:25], v[111:112], v[24:25], v[85:86]
	v_fma_f64 v[26:27], v[111:112], v[26:27], -v[87:88]
	v_mul_f64 v[99:100], v[129:130], v[49:50]
	v_add_co_ci_u32_e64 v88, s0, s9, v81, s0
	v_fma_f64 v[53:54], v[135:136], v[16:17], v[53:54]
	v_fma_f64 v[55:56], v[135:136], v[18:19], -v[55:56]
	v_fma_f64 v[35:36], v[117:118], v[35:36], v[57:58]
	v_add_co_u32 v82, s0, v59, v82
	s_delay_alu instid0(VALU_DEP_1) | instskip(SKIP_1) | instid1(VALU_DEP_3)
	v_add_co_ci_u32_e64 v83, s0, v88, v83, s0
	v_mov_b32_e32 v85, v32
	v_add_co_u32 v32, s0, v82, s10
	s_delay_alu instid0(VALU_DEP_1) | instskip(NEXT) | instid1(VALU_DEP_3)
	v_add_co_ci_u32_e64 v33, s0, s11, v83, s0
	v_lshlrev_b64 v[84:85], 4, v[84:85]
	v_fma_f64 v[49:50], v[127:128], v[49:50], -v[101:102]
	s_delay_alu instid0(VALU_DEP_3) | instskip(NEXT) | instid1(VALU_DEP_3)
	v_mad_u64_u32 v[86:87], null, 0xfffff8b0, s4, v[32:33]
	v_add_co_u32 v84, s0, v59, v84
	s_delay_alu instid0(VALU_DEP_1) | instskip(NEXT) | instid1(VALU_DEP_3)
	v_add_co_ci_u32_e64 v85, s0, v88, v85, s0
	v_add_nc_u32_e32 v87, s1, v87
	s_mul_i32 s1, s5, 0xfffffefb
	v_mul_f64 v[12:13], v[12:13], s[2:3]
	v_mul_f64 v[14:15], v[14:15], s[2:3]
	v_mul_f64 v[8:9], v[8:9], s[2:3]
	v_fma_f64 v[37:38], v[117:118], v[37:38], -v[72:73]
	v_mul_f64 v[10:11], v[10:11], s[2:3]
	v_mul_f64 v[16:17], v[24:25], s[2:3]
	;; [unrolled: 1-line block ×3, first 2 shown]
	v_fma_f64 v[47:48], v[127:128], v[47:48], v[99:100]
	s_waitcnt vmcnt(2)
	v_mul_f64 v[74:75], v[115:116], v[30:31]
	v_mul_f64 v[76:77], v[115:116], v[28:29]
	s_waitcnt vmcnt(1) lgkmcnt(1)
	v_mul_f64 v[51:52], v[139:140], v[66:67]
	v_mul_f64 v[107:108], v[139:140], v[64:65]
	scratch_load_b128 v[139:142], off, off offset:248 ; 16-byte Folded Reload
	s_waitcnt vmcnt(1)
	v_mul_f64 v[91:92], v[121:122], v[41:42]
	v_mul_f64 v[93:94], v[121:122], v[39:40]
	scratch_load_b128 v[121:124], off, off offset:120 ; 16-byte Folded Reload
	v_fma_f64 v[28:29], v[113:114], v[28:29], v[74:75]
	v_fma_f64 v[30:31], v[113:114], v[30:31], -v[76:77]
	v_fma_f64 v[51:52], v[137:138], v[64:65], v[51:52]
	v_fma_f64 v[24:25], v[119:120], v[39:40], v[91:92]
	v_fma_f64 v[26:27], v[119:120], v[41:42], -v[93:94]
	s_waitcnt vmcnt(1) lgkmcnt(0)
	v_mul_f64 v[109:110], v[141:142], v[70:71]
	v_mul_f64 v[80:81], v[141:142], v[68:69]
	s_waitcnt vmcnt(0)
	v_mul_f64 v[95:96], v[123:124], v[62:63]
	v_mul_f64 v[97:98], v[123:124], v[60:61]
	scratch_load_b128 v[123:126], off, off offset:136 ; 16-byte Folded Reload
	v_mul_f64 v[78:79], v[133:134], v[45:46]
	v_mul_f64 v[89:90], v[133:134], v[43:44]
	s_clause 0x3
	global_store_b128 v[82:83], v[0:3], off
	global_store_b128 v[32:33], v[4:7], off
	global_store_b128 v[84:85], v[8:11], off
	global_store_b128 v[86:87], v[12:15], off
	v_mul_f64 v[0:1], v[53:54], s[2:3]
	v_mul_f64 v[2:3], v[55:56], s[2:3]
	v_add_co_u32 v32, s0, v86, s10
	s_delay_alu instid0(VALU_DEP_1) | instskip(SKIP_2) | instid1(VALU_DEP_4)
	v_add_co_ci_u32_e64 v33, s0, s11, v87, s0
	v_mul_f64 v[4:5], v[35:36], s[2:3]
	v_mul_f64 v[6:7], v[37:38], s[2:3]
	v_add_co_u32 v53, s0, v32, s10
	s_delay_alu instid0(VALU_DEP_1)
	v_add_co_ci_u32_e64 v54, s0, s11, v33, s0
	s_mul_hi_u32 s0, s4, 0xfffffefb
	v_mul_f64 v[8:9], v[28:29], s[2:3]
	s_sub_i32 s0, s0, s4
	v_mul_f64 v[10:11], v[30:31], s[2:3]
	s_add_i32 s1, s0, s1
	s_mul_i32 s0, s4, 0xfffffefb
	global_store_b128 v[32:33], v[16:19], off
	s_lshl_b64 s[4:5], s[0:1], 4
	v_mul_f64 v[28:29], v[47:48], s[2:3]
	v_add_co_u32 v55, s0, v53, s4
	s_delay_alu instid0(VALU_DEP_1)
	v_add_co_ci_u32_e64 v56, s0, s5, v54, s0
	v_mul_f64 v[30:31], v[49:50], s[2:3]
	v_fma_f64 v[39:40], v[121:122], v[60:61], v[95:96]
	v_fma_f64 v[41:42], v[121:122], v[62:63], -v[97:98]
	v_fma_f64 v[61:62], v[137:138], v[66:67], -v[107:108]
	v_fma_f64 v[43:44], v[131:132], v[43:44], v[78:79]
	v_fma_f64 v[45:46], v[131:132], v[45:46], -v[89:90]
	v_fma_f64 v[63:64], v[139:140], v[68:69], v[109:110]
	v_fma_f64 v[65:66], v[139:140], v[70:71], -v[80:81]
	v_add_co_u32 v67, s0, v55, s10
	s_delay_alu instid0(VALU_DEP_1)
	v_add_co_ci_u32_e64 v68, s0, s11, v56, s0
	global_store_b128 v[53:54], v[0:3], off
	v_add_co_u32 v47, s0, v67, s10
	global_store_b128 v[55:56], v[4:7], off
	v_add_co_ci_u32_e64 v48, s0, s11, v68, s0
	v_add_co_u32 v16, s0, v47, s4
	s_delay_alu instid0(VALU_DEP_1) | instskip(SKIP_2) | instid1(VALU_DEP_1)
	v_add_co_ci_u32_e64 v17, s0, s5, v48, s0
	global_store_b128 v[67:68], v[8:11], off
	v_add_co_u32 v2, s0, v16, s10
	v_add_co_ci_u32_e64 v3, s0, s11, v17, s0
	s_delay_alu instid0(VALU_DEP_2) | instskip(NEXT) | instid1(VALU_DEP_1)
	v_add_co_u32 v4, s0, v2, s10
	v_add_co_ci_u32_e64 v5, s0, s11, v3, s0
	s_delay_alu instid0(VALU_DEP_2) | instskip(NEXT) | instid1(VALU_DEP_1)
	;; [unrolled: 3-line block ×3, first 2 shown]
	v_add_co_u32 v8, s0, v6, s10
	v_add_co_ci_u32_e64 v9, s0, s11, v7, s0
	v_mul_f64 v[12:13], v[43:44], s[2:3]
	v_mul_f64 v[14:15], v[45:46], s[2:3]
	;; [unrolled: 1-line block ×4, first 2 shown]
	v_add_co_u32 v0, s0, v8, s10
	s_delay_alu instid0(VALU_DEP_1) | instskip(SKIP_4) | instid1(VALU_DEP_2)
	v_add_co_ci_u32_e64 v1, s0, s11, v9, s0
	global_store_b128 v[47:48], v[12:15], off
	s_waitcnt vmcnt(0)
	v_mul_f64 v[103:104], v[125:126], v[22:23]
	v_mul_f64 v[105:106], v[125:126], v[20:21]
	v_fma_f64 v[57:58], v[123:124], v[20:21], v[103:104]
	s_delay_alu instid0(VALU_DEP_2)
	v_fma_f64 v[59:60], v[123:124], v[22:23], -v[105:106]
	v_mul_f64 v[20:21], v[24:25], s[2:3]
	v_mul_f64 v[22:23], v[26:27], s[2:3]
	;; [unrolled: 1-line block ×8, first 2 shown]
	global_store_b128 v[16:17], v[20:23], off
	global_store_b128 v[2:3], v[24:27], off
	global_store_b128 v[4:5], v[28:31], off
	global_store_b128 v[6:7], v[35:38], off
	global_store_b128 v[8:9], v[39:42], off
	global_store_b128 v[0:1], v[43:46], off
	s_and_b32 exec_lo, exec_lo, vcc_lo
	s_cbranch_execz .LBB0_31
; %bb.30:
	scratch_load_b64 v[2:3], off, off       ; 8-byte Folded Reload
	s_waitcnt vmcnt(0)
	global_load_b128 v[2:5], v[2:3], off offset:2160
	ds_load_b128 v[6:9], v34 offset:2160
	ds_load_b128 v[10:13], v34 offset:4464
	s_waitcnt vmcnt(0) lgkmcnt(1)
	v_mul_f64 v[14:15], v[8:9], v[4:5]
	v_mul_f64 v[4:5], v[6:7], v[4:5]
	s_delay_alu instid0(VALU_DEP_2) | instskip(SKIP_4) | instid1(VALU_DEP_3)
	v_fma_f64 v[6:7], v[6:7], v[2:3], v[14:15]
	scratch_load_b64 v[14:15], off, off offset:64 ; 8-byte Folded Reload
	v_fma_f64 v[4:5], v[2:3], v[8:9], -v[4:5]
	v_mul_f64 v[2:3], v[6:7], s[2:3]
	v_add_co_u32 v6, vcc_lo, v0, s4
	v_mul_f64 v[4:5], v[4:5], s[2:3]
	v_add_co_ci_u32_e32 v7, vcc_lo, s5, v1, vcc_lo
	s_delay_alu instid0(VALU_DEP_3) | instskip(NEXT) | instid1(VALU_DEP_2)
	v_add_co_u32 v8, vcc_lo, v6, s10
	v_add_co_ci_u32_e32 v9, vcc_lo, s11, v7, vcc_lo
	global_store_b128 v[6:7], v[2:5], off
	s_waitcnt vmcnt(0)
	global_load_b128 v[0:3], v[14:15], off offset:368
	s_waitcnt vmcnt(0) lgkmcnt(0)
	v_mul_f64 v[4:5], v[12:13], v[2:3]
	v_mul_f64 v[2:3], v[10:11], v[2:3]
	s_delay_alu instid0(VALU_DEP_2) | instskip(NEXT) | instid1(VALU_DEP_2)
	v_fma_f64 v[4:5], v[10:11], v[0:1], v[4:5]
	v_fma_f64 v[2:3], v[0:1], v[12:13], -v[2:3]
	s_delay_alu instid0(VALU_DEP_2) | instskip(NEXT) | instid1(VALU_DEP_2)
	v_mul_f64 v[0:1], v[4:5], s[2:3]
	v_mul_f64 v[2:3], v[2:3], s[2:3]
	ds_load_b128 v[4:7], v34 offset:6768
	global_store_b128 v[8:9], v[0:3], off
	global_load_b128 v[0:3], v[14:15], off offset:2672
	s_waitcnt vmcnt(0) lgkmcnt(0)
	v_mul_f64 v[10:11], v[6:7], v[2:3]
	v_mul_f64 v[2:3], v[4:5], v[2:3]
	s_delay_alu instid0(VALU_DEP_2) | instskip(NEXT) | instid1(VALU_DEP_2)
	v_fma_f64 v[4:5], v[4:5], v[0:1], v[10:11]
	v_fma_f64 v[2:3], v[0:1], v[6:7], -v[2:3]
	s_delay_alu instid0(VALU_DEP_2) | instskip(NEXT) | instid1(VALU_DEP_2)
	v_mul_f64 v[0:1], v[4:5], s[2:3]
	v_mul_f64 v[2:3], v[2:3], s[2:3]
	v_add_co_u32 v4, vcc_lo, v8, s10
	v_add_co_ci_u32_e32 v5, vcc_lo, s11, v9, vcc_lo
	global_store_b128 v[4:5], v[0:3], off
.LBB0_31:
	s_nop 0
	s_sendmsg sendmsg(MSG_DEALLOC_VGPRS)
	s_endpgm
	.section	.rodata,"a",@progbits
	.p2align	6, 0x0
	.amdhsa_kernel bluestein_single_back_len432_dim1_dp_op_CI_CI
		.amdhsa_group_segment_fixed_size 13824
		.amdhsa_private_segment_fixed_size 352
		.amdhsa_kernarg_size 104
		.amdhsa_user_sgpr_count 15
		.amdhsa_user_sgpr_dispatch_ptr 0
		.amdhsa_user_sgpr_queue_ptr 0
		.amdhsa_user_sgpr_kernarg_segment_ptr 1
		.amdhsa_user_sgpr_dispatch_id 0
		.amdhsa_user_sgpr_private_segment_size 0
		.amdhsa_wavefront_size32 1
		.amdhsa_uses_dynamic_stack 0
		.amdhsa_enable_private_segment 1
		.amdhsa_system_sgpr_workgroup_id_x 1
		.amdhsa_system_sgpr_workgroup_id_y 0
		.amdhsa_system_sgpr_workgroup_id_z 0
		.amdhsa_system_sgpr_workgroup_info 0
		.amdhsa_system_vgpr_workitem_id 0
		.amdhsa_next_free_vgpr 256
		.amdhsa_next_free_sgpr 22
		.amdhsa_reserve_vcc 1
		.amdhsa_float_round_mode_32 0
		.amdhsa_float_round_mode_16_64 0
		.amdhsa_float_denorm_mode_32 3
		.amdhsa_float_denorm_mode_16_64 3
		.amdhsa_dx10_clamp 1
		.amdhsa_ieee_mode 1
		.amdhsa_fp16_overflow 0
		.amdhsa_workgroup_processor_mode 1
		.amdhsa_memory_ordered 1
		.amdhsa_forward_progress 0
		.amdhsa_shared_vgpr_count 0
		.amdhsa_exception_fp_ieee_invalid_op 0
		.amdhsa_exception_fp_denorm_src 0
		.amdhsa_exception_fp_ieee_div_zero 0
		.amdhsa_exception_fp_ieee_overflow 0
		.amdhsa_exception_fp_ieee_underflow 0
		.amdhsa_exception_fp_ieee_inexact 0
		.amdhsa_exception_int_div_zero 0
	.end_amdhsa_kernel
	.text
.Lfunc_end0:
	.size	bluestein_single_back_len432_dim1_dp_op_CI_CI, .Lfunc_end0-bluestein_single_back_len432_dim1_dp_op_CI_CI
                                        ; -- End function
	.section	.AMDGPU.csdata,"",@progbits
; Kernel info:
; codeLenInByte = 19444
; NumSgprs: 24
; NumVgprs: 256
; ScratchSize: 352
; MemoryBound: 0
; FloatMode: 240
; IeeeMode: 1
; LDSByteSize: 13824 bytes/workgroup (compile time only)
; SGPRBlocks: 2
; VGPRBlocks: 31
; NumSGPRsForWavesPerEU: 24
; NumVGPRsForWavesPerEU: 256
; Occupancy: 5
; WaveLimiterHint : 1
; COMPUTE_PGM_RSRC2:SCRATCH_EN: 1
; COMPUTE_PGM_RSRC2:USER_SGPR: 15
; COMPUTE_PGM_RSRC2:TRAP_HANDLER: 0
; COMPUTE_PGM_RSRC2:TGID_X_EN: 1
; COMPUTE_PGM_RSRC2:TGID_Y_EN: 0
; COMPUTE_PGM_RSRC2:TGID_Z_EN: 0
; COMPUTE_PGM_RSRC2:TIDIG_COMP_CNT: 0
	.text
	.p2alignl 7, 3214868480
	.fill 96, 4, 3214868480
	.type	__hip_cuid_851561f2e299a94,@object ; @__hip_cuid_851561f2e299a94
	.section	.bss,"aw",@nobits
	.globl	__hip_cuid_851561f2e299a94
__hip_cuid_851561f2e299a94:
	.byte	0                               ; 0x0
	.size	__hip_cuid_851561f2e299a94, 1

	.ident	"AMD clang version 19.0.0git (https://github.com/RadeonOpenCompute/llvm-project roc-6.4.0 25133 c7fe45cf4b819c5991fe208aaa96edf142730f1d)"
	.section	".note.GNU-stack","",@progbits
	.addrsig
	.addrsig_sym __hip_cuid_851561f2e299a94
	.amdgpu_metadata
---
amdhsa.kernels:
  - .args:
      - .actual_access:  read_only
        .address_space:  global
        .offset:         0
        .size:           8
        .value_kind:     global_buffer
      - .actual_access:  read_only
        .address_space:  global
        .offset:         8
        .size:           8
        .value_kind:     global_buffer
      - .actual_access:  read_only
        .address_space:  global
        .offset:         16
        .size:           8
        .value_kind:     global_buffer
      - .actual_access:  read_only
        .address_space:  global
        .offset:         24
        .size:           8
        .value_kind:     global_buffer
      - .actual_access:  read_only
        .address_space:  global
        .offset:         32
        .size:           8
        .value_kind:     global_buffer
      - .offset:         40
        .size:           8
        .value_kind:     by_value
      - .address_space:  global
        .offset:         48
        .size:           8
        .value_kind:     global_buffer
      - .address_space:  global
        .offset:         56
        .size:           8
        .value_kind:     global_buffer
      - .address_space:  global
        .offset:         64
        .size:           8
        .value_kind:     global_buffer
      - .address_space:  global
        .offset:         72
        .size:           8
        .value_kind:     global_buffer
      - .offset:         80
        .size:           4
        .value_kind:     by_value
      - .address_space:  global
        .offset:         88
        .size:           8
        .value_kind:     global_buffer
      - .address_space:  global
        .offset:         96
        .size:           8
        .value_kind:     global_buffer
    .group_segment_fixed_size: 13824
    .kernarg_segment_align: 8
    .kernarg_segment_size: 104
    .language:       OpenCL C
    .language_version:
      - 2
      - 0
    .max_flat_workgroup_size: 54
    .name:           bluestein_single_back_len432_dim1_dp_op_CI_CI
    .private_segment_fixed_size: 352
    .sgpr_count:     24
    .sgpr_spill_count: 0
    .symbol:         bluestein_single_back_len432_dim1_dp_op_CI_CI.kd
    .uniform_work_group_size: 1
    .uses_dynamic_stack: false
    .vgpr_count:     256
    .vgpr_spill_count: 87
    .wavefront_size: 32
    .workgroup_processor_mode: 1
amdhsa.target:   amdgcn-amd-amdhsa--gfx1100
amdhsa.version:
  - 1
  - 2
...

	.end_amdgpu_metadata
